;; amdgpu-corpus repo=zjin-lcf/HeCBench kind=compiled arch=gfx950 opt=O3
	.amdgcn_target "amdgcn-amd-amdhsa--gfx950"
	.amdhsa_code_object_version 6
	.text
	.protected	_Z11pnpoly_basePiPK15HIP_vector_typeIfLj2EES3_i ; -- Begin function _Z11pnpoly_basePiPK15HIP_vector_typeIfLj2EES3_i
	.globl	_Z11pnpoly_basePiPK15HIP_vector_typeIfLj2EES3_i
	.p2align	8
	.type	_Z11pnpoly_basePiPK15HIP_vector_typeIfLj2EES3_i,@function
_Z11pnpoly_basePiPK15HIP_vector_typeIfLj2EES3_i: ; @_Z11pnpoly_basePiPK15HIP_vector_typeIfLj2EES3_i
; %bb.0:
	s_load_dword s3, s[0:1], 0x2c
	s_load_dword s4, s[0:1], 0x18
	s_waitcnt lgkmcnt(0)
	s_and_b32 s3, s3, 0xffff
	s_mul_i32 s2, s2, s3
	v_add_u32_e32 v0, s2, v0
	v_cmp_gt_i32_e32 vcc, s4, v0
	s_and_saveexec_b64 s[2:3], vcc
	s_cbranch_execz .LBB0_16
; %bb.1:
	s_load_dwordx4 s[4:7], s[0:1], 0x0
	s_load_dwordx2 s[2:3], s[0:1], 0x10
	v_ashrrev_i32_e32 v1, 31, v0
	v_mov_b32_e32 v6, 0
	s_mov_b64 s[8:9], 0
	s_waitcnt lgkmcnt(0)
	v_lshl_add_u64 v[2:3], v[0:1], 3, s[6:7]
	global_load_dwordx2 v[2:3], v[2:3], off
	s_load_dword s12, s[2:3], 0x12bc
	s_mov_b32 s7, 0
	s_movk_i32 s6, 0x257
	s_mov_b32 s15, s7
	s_waitcnt vmcnt(0)
	v_mov_b32_e32 v4, v3
	s_branch .LBB0_4
.LBB0_2:                                ;   in Loop: Header=BB0_4 Depth=1
	s_or_b64 exec, exec, s[10:11]
.LBB0_3:                                ;   in Loop: Header=BB0_4 Depth=1
	s_or_b64 exec, exec, s[0:1]
	s_add_i32 s6, s15, 2
	s_add_i32 s15, s15, 3
	s_add_u32 s8, s8, 24
	s_addc_u32 s9, s9, 0
	s_cmpk_eq_i32 s8, 0x12c0
	s_cbranch_scc1 .LBB0_15
.LBB0_4:                                ; =>This Inner Loop Header: Depth=1
	s_add_u32 s10, s2, s8
	s_addc_u32 s11, s3, s9
	s_load_dword s14, s[10:11], 0x4
	s_waitcnt lgkmcnt(0)
	v_cmp_ngt_f32_e64 s[0:1], s12, v3
	v_cmp_gt_f32_e32 vcc, s14, v3
	s_xor_b64 s[0:1], vcc, s[0:1]
	s_xor_b64 s[16:17], s[0:1], -1
	s_and_saveexec_b64 s[0:1], s[16:17]
	s_cbranch_execz .LBB0_8
; %bb.5:                                ;   in Loop: Header=BB0_4 Depth=1
	s_lshl_b64 s[16:17], s[6:7], 3
	s_add_u32 s16, s2, s16
	s_addc_u32 s17, s3, s17
	s_load_dword s6, s[10:11], 0x0
	s_load_dword s13, s[16:17], 0x0
	v_mov_b32_e32 v5, s12
	v_pk_add_f32 v[8:9], v[4:5], s[14:15] op_sel_hi:[1,0] neg_lo:[0,1] neg_hi:[0,1]
	s_waitcnt lgkmcnt(0)
	v_mov_b32_e32 v5, s6
	v_sub_f32_e32 v5, s13, v5
	v_div_scale_f32 v7, s[12:13], v9, v9, v5
	v_rcp_f32_e32 v10, v7
	v_div_scale_f32 v11, vcc, v5, v9, v5
	v_fma_f32 v12, -v7, v10, 1.0
	v_fmac_f32_e32 v10, v12, v10
	v_mul_f32_e32 v12, v11, v10
	v_fma_f32 v13, -v7, v12, v11
	v_fmac_f32_e32 v12, v13, v10
	v_fma_f32 v7, -v7, v12, v11
	v_div_fmas_f32 v7, v7, v10, v12
	v_div_fixup_f32 v5, v7, v9, v5
	v_fma_f32 v5, v8, v5, s6
	v_cmp_lt_f32_e32 vcc, v2, v5
	s_and_saveexec_b64 s[12:13], vcc
; %bb.6:                                ;   in Loop: Header=BB0_4 Depth=1
	v_cmp_eq_u32_e32 vcc, 0, v6
	s_nop 1
	v_cndmask_b32_e64 v6, 0, 1, vcc
; %bb.7:                                ;   in Loop: Header=BB0_4 Depth=1
	s_or_b64 exec, exec, s[12:13]
.LBB0_8:                                ;   in Loop: Header=BB0_4 Depth=1
	s_or_b64 exec, exec, s[0:1]
	s_load_dword s6, s[10:11], 0xc
	v_cmp_ngt_f32_e64 s[0:1], s14, v3
	s_waitcnt lgkmcnt(0)
	v_cmp_gt_f32_e32 vcc, s6, v3
	s_xor_b64 s[0:1], vcc, s[0:1]
	s_xor_b64 s[12:13], s[0:1], -1
	s_and_saveexec_b64 s[0:1], s[12:13]
	s_cbranch_execz .LBB0_12
; %bb.9:                                ;   in Loop: Header=BB0_4 Depth=1
	s_load_dword s16, s[10:11], 0x8
	s_load_dword s12, s[10:11], 0x0
	v_mov_b32_e32 v5, s14
	v_pk_add_f32 v[8:9], v[4:5], s[6:7] op_sel_hi:[1,0] neg_lo:[0,1] neg_hi:[0,1]
	s_waitcnt lgkmcnt(0)
	v_mov_b32_e32 v5, s16
	v_sub_f32_e32 v5, s12, v5
	v_div_scale_f32 v7, s[12:13], v9, v9, v5
	v_rcp_f32_e32 v10, v7
	v_div_scale_f32 v11, vcc, v5, v9, v5
	v_fma_f32 v12, -v7, v10, 1.0
	v_fmac_f32_e32 v10, v12, v10
	v_mul_f32_e32 v12, v11, v10
	v_fma_f32 v13, -v7, v12, v11
	v_fmac_f32_e32 v12, v13, v10
	v_fma_f32 v7, -v7, v12, v11
	v_div_fmas_f32 v7, v7, v10, v12
	v_div_fixup_f32 v5, v7, v9, v5
	v_fma_f32 v5, v8, v5, s16
	v_cmp_lt_f32_e32 vcc, v2, v5
	s_and_saveexec_b64 s[12:13], vcc
; %bb.10:                               ;   in Loop: Header=BB0_4 Depth=1
	v_cmp_eq_u32_e32 vcc, 0, v6
	s_nop 1
	v_cndmask_b32_e64 v6, 0, 1, vcc
; %bb.11:                               ;   in Loop: Header=BB0_4 Depth=1
	s_or_b64 exec, exec, s[12:13]
.LBB0_12:                               ;   in Loop: Header=BB0_4 Depth=1
	s_or_b64 exec, exec, s[0:1]
	s_load_dword s12, s[10:11], 0x14
	v_cmp_ngt_f32_e64 s[0:1], s6, v3
	s_waitcnt lgkmcnt(0)
	v_cmp_gt_f32_e32 vcc, s12, v3
	s_xor_b64 s[0:1], vcc, s[0:1]
	s_xor_b64 s[16:17], s[0:1], -1
	s_and_saveexec_b64 s[0:1], s[16:17]
	s_cbranch_execz .LBB0_3
; %bb.13:                               ;   in Loop: Header=BB0_4 Depth=1
	s_load_dword s13, s[10:11], 0x10
	s_load_dword s14, s[10:11], 0x8
	v_mov_b32_e32 v5, s6
	s_waitcnt lgkmcnt(0)
	v_pk_add_f32 v[8:9], v[4:5], s[12:13] op_sel_hi:[1,0] neg_lo:[0,1] neg_hi:[0,1]
	v_mov_b32_e32 v5, s13
	v_sub_f32_e32 v5, s14, v5
	v_div_scale_f32 v7, s[10:11], v9, v9, v5
	v_rcp_f32_e32 v10, v7
	v_div_scale_f32 v11, vcc, v5, v9, v5
	v_fma_f32 v12, -v7, v10, 1.0
	v_fmac_f32_e32 v10, v12, v10
	v_mul_f32_e32 v12, v11, v10
	v_fma_f32 v13, -v7, v12, v11
	v_fmac_f32_e32 v12, v13, v10
	v_fma_f32 v7, -v7, v12, v11
	v_div_fmas_f32 v7, v7, v10, v12
	v_div_fixup_f32 v5, v7, v9, v5
	v_fma_f32 v5, v8, v5, s13
	v_cmp_lt_f32_e32 vcc, v2, v5
	s_and_saveexec_b64 s[10:11], vcc
	s_cbranch_execz .LBB0_2
; %bb.14:                               ;   in Loop: Header=BB0_4 Depth=1
	v_cmp_eq_u32_e32 vcc, 0, v6
	s_nop 1
	v_cndmask_b32_e64 v6, 0, 1, vcc
	s_branch .LBB0_2
.LBB0_15:
	v_lshl_add_u64 v[0:1], v[0:1], 2, s[4:5]
	global_store_dword v[0:1], v6, off
.LBB0_16:
	s_endpgm
	.section	.rodata,"a",@progbits
	.p2align	6, 0x0
	.amdhsa_kernel _Z11pnpoly_basePiPK15HIP_vector_typeIfLj2EES3_i
		.amdhsa_group_segment_fixed_size 0
		.amdhsa_private_segment_fixed_size 0
		.amdhsa_kernarg_size 288
		.amdhsa_user_sgpr_count 2
		.amdhsa_user_sgpr_dispatch_ptr 0
		.amdhsa_user_sgpr_queue_ptr 0
		.amdhsa_user_sgpr_kernarg_segment_ptr 1
		.amdhsa_user_sgpr_dispatch_id 0
		.amdhsa_user_sgpr_kernarg_preload_length 0
		.amdhsa_user_sgpr_kernarg_preload_offset 0
		.amdhsa_user_sgpr_private_segment_size 0
		.amdhsa_uses_dynamic_stack 0
		.amdhsa_enable_private_segment 0
		.amdhsa_system_sgpr_workgroup_id_x 1
		.amdhsa_system_sgpr_workgroup_id_y 0
		.amdhsa_system_sgpr_workgroup_id_z 0
		.amdhsa_system_sgpr_workgroup_info 0
		.amdhsa_system_vgpr_workitem_id 0
		.amdhsa_next_free_vgpr 14
		.amdhsa_next_free_sgpr 18
		.amdhsa_accum_offset 16
		.amdhsa_reserve_vcc 1
		.amdhsa_float_round_mode_32 0
		.amdhsa_float_round_mode_16_64 0
		.amdhsa_float_denorm_mode_32 3
		.amdhsa_float_denorm_mode_16_64 3
		.amdhsa_dx10_clamp 1
		.amdhsa_ieee_mode 1
		.amdhsa_fp16_overflow 0
		.amdhsa_tg_split 0
		.amdhsa_exception_fp_ieee_invalid_op 0
		.amdhsa_exception_fp_denorm_src 0
		.amdhsa_exception_fp_ieee_div_zero 0
		.amdhsa_exception_fp_ieee_overflow 0
		.amdhsa_exception_fp_ieee_underflow 0
		.amdhsa_exception_fp_ieee_inexact 0
		.amdhsa_exception_int_div_zero 0
	.end_amdhsa_kernel
	.text
.Lfunc_end0:
	.size	_Z11pnpoly_basePiPK15HIP_vector_typeIfLj2EES3_i, .Lfunc_end0-_Z11pnpoly_basePiPK15HIP_vector_typeIfLj2EES3_i
                                        ; -- End function
	.set _Z11pnpoly_basePiPK15HIP_vector_typeIfLj2EES3_i.num_vgpr, 14
	.set _Z11pnpoly_basePiPK15HIP_vector_typeIfLj2EES3_i.num_agpr, 0
	.set _Z11pnpoly_basePiPK15HIP_vector_typeIfLj2EES3_i.numbered_sgpr, 18
	.set _Z11pnpoly_basePiPK15HIP_vector_typeIfLj2EES3_i.num_named_barrier, 0
	.set _Z11pnpoly_basePiPK15HIP_vector_typeIfLj2EES3_i.private_seg_size, 0
	.set _Z11pnpoly_basePiPK15HIP_vector_typeIfLj2EES3_i.uses_vcc, 1
	.set _Z11pnpoly_basePiPK15HIP_vector_typeIfLj2EES3_i.uses_flat_scratch, 0
	.set _Z11pnpoly_basePiPK15HIP_vector_typeIfLj2EES3_i.has_dyn_sized_stack, 0
	.set _Z11pnpoly_basePiPK15HIP_vector_typeIfLj2EES3_i.has_recursion, 0
	.set _Z11pnpoly_basePiPK15HIP_vector_typeIfLj2EES3_i.has_indirect_call, 0
	.section	.AMDGPU.csdata,"",@progbits
; Kernel info:
; codeLenInByte = 776
; TotalNumSgprs: 24
; NumVgprs: 14
; NumAgprs: 0
; TotalNumVgprs: 14
; ScratchSize: 0
; MemoryBound: 0
; FloatMode: 240
; IeeeMode: 1
; LDSByteSize: 0 bytes/workgroup (compile time only)
; SGPRBlocks: 2
; VGPRBlocks: 1
; NumSGPRsForWavesPerEU: 24
; NumVGPRsForWavesPerEU: 14
; AccumOffset: 16
; Occupancy: 8
; WaveLimiterHint : 0
; COMPUTE_PGM_RSRC2:SCRATCH_EN: 0
; COMPUTE_PGM_RSRC2:USER_SGPR: 2
; COMPUTE_PGM_RSRC2:TRAP_HANDLER: 0
; COMPUTE_PGM_RSRC2:TGID_X_EN: 1
; COMPUTE_PGM_RSRC2:TGID_Y_EN: 0
; COMPUTE_PGM_RSRC2:TGID_Z_EN: 0
; COMPUTE_PGM_RSRC2:TIDIG_COMP_CNT: 0
; COMPUTE_PGM_RSRC3_GFX90A:ACCUM_OFFSET: 3
; COMPUTE_PGM_RSRC3_GFX90A:TG_SPLIT: 0
	.section	.text._Z10pnpoly_optILi1EEvPiPK15HIP_vector_typeIfLj2EES4_i,"axG",@progbits,_Z10pnpoly_optILi1EEvPiPK15HIP_vector_typeIfLj2EES4_i,comdat
	.protected	_Z10pnpoly_optILi1EEvPiPK15HIP_vector_typeIfLj2EES4_i ; -- Begin function _Z10pnpoly_optILi1EEvPiPK15HIP_vector_typeIfLj2EES4_i
	.globl	_Z10pnpoly_optILi1EEvPiPK15HIP_vector_typeIfLj2EES4_i
	.p2align	8
	.type	_Z10pnpoly_optILi1EEvPiPK15HIP_vector_typeIfLj2EES4_i,@function
_Z10pnpoly_optILi1EEvPiPK15HIP_vector_typeIfLj2EES4_i: ; @_Z10pnpoly_optILi1EEvPiPK15HIP_vector_typeIfLj2EES4_i
; %bb.0:
	s_load_dword s3, s[0:1], 0x18
	v_lshl_add_u32 v0, s2, 8, v0
	s_waitcnt lgkmcnt(0)
	v_cmp_gt_i32_e32 vcc, s3, v0
	s_and_saveexec_b64 s[2:3], vcc
	s_cbranch_execz .LBB1_4
; %bb.1:
	s_load_dwordx4 s[4:7], s[0:1], 0x0
	s_load_dwordx2 s[8:9], s[0:1], 0x10
	v_ashrrev_i32_e32 v1, 31, v0
	s_mov_b32 s11, 0
	s_movk_i32 s24, 0x258
	s_waitcnt lgkmcnt(0)
	v_lshl_add_u64 v[2:3], v[0:1], 3, s[6:7]
	global_load_dwordx2 v[2:3], v[2:3], off
	s_load_dwordx2 s[12:13], s[8:9], 0x12b8
	s_mov_b32 s6, 1
	v_mov_b32_e32 v6, 0
	v_mov_b32_e32 v7, 0
	s_mov_b32 s10, s11
	s_waitcnt lgkmcnt(0)
	s_mov_b32 s14, s13
	s_waitcnt vmcnt(0)
	v_mov_b32_e32 v4, v2
	v_mov_b32_e32 v5, v2
	;; [unrolled: 1-line block ×3, first 2 shown]
.LBB1_2:                                ; =>This Inner Loop Header: Depth=1
	s_lshl_b64 s[0:1], s[10:11], 3
	s_mov_b32 s7, s11
	s_add_u32 s0, s8, s0
	s_addc_u32 s1, s9, s1
	s_lshl_b64 s[16:17], s[6:7], 3
	s_add_u32 s16, s8, s16
	s_addc_u32 s17, s9, s17
	s_load_dwordx2 s[18:19], s[0:1], 0x0
	v_cmp_gt_f32_e32 vcc, s14, v2
	s_load_dwordx2 s[16:17], s[16:17], 0x0
	s_mov_b32 s3, s11
	s_add_i32 s2, s10, 2
	s_waitcnt lgkmcnt(0)
	s_mov_b32 s26, s18
	s_mov_b32 s28, s19
	;; [unrolled: 1-line block ×6, first 2 shown]
	v_cmp_gt_f32_e64 s[0:1], s19, v2
	v_mov_b64_e32 v[8:9], s[26:27]
	v_mov_b64_e32 v[10:11], s[28:29]
	s_lshl_b64 s[22:23], s[2:3], 3
	v_cmp_gt_f32_e64 s[2:3], s19, v3
	s_xor_b64 s[30:31], s[0:1], vcc
	v_cmp_gt_f32_e32 vcc, s17, v3
	v_pk_add_f32 v[8:9], s[12:13], v[8:9] neg_lo:[0,1] neg_hi:[0,1]
	v_pk_add_f32 v[10:11], s[14:15], v[10:11] neg_lo:[0,1] neg_hi:[0,1]
	s_xor_b64 s[34:35], vcc, s[2:3]
	v_div_scale_f32 v14, s[2:3], v11, v11, v9
	v_div_scale_f32 v16, s[2:3], v10, v10, v8
	v_rcp_f32_e32 v18, v14
	v_rcp_f32_e32 v19, v16
	v_div_scale_f32 v15, vcc, v9, v11, v9
	v_fma_f32 v20, -v14, v18, 1.0
	v_fma_f32 v21, -v16, v19, 1.0
	v_fmac_f32_e32 v18, v20, v18
	v_div_scale_f32 v17, s[2:3], v8, v10, v8
	v_fmac_f32_e32 v19, v21, v19
	v_mul_f32_e32 v20, v15, v18
	v_mul_f32_e32 v21, v17, v19
	v_fma_f32 v22, -v14, v20, v15
	v_fma_f32 v23, -v16, v21, v17
	v_fmac_f32_e32 v20, v22, v18
	v_fmac_f32_e32 v21, v23, v19
	v_fma_f32 v14, -v14, v20, v15
	v_fma_f32 v15, -v16, v21, v17
	v_div_fmas_f32 v14, v14, v18, v20
	s_mov_b64 vcc, s[2:3]
	v_div_fixup_f32 v9, v14, v11, v9
	v_div_fmas_f32 v11, v15, v19, v21
	v_pk_add_f32 v[12:13], v[2:3], s[28:29] neg_lo:[0,1] neg_hi:[0,1]
	v_div_fixup_f32 v8, v11, v10, v8
	v_pk_fma_f32 v[8:9], v[12:13], v[8:9], s[26:27]
	s_add_i32 s20, s6, 2
	v_cmp_lt_f32_e32 vcc, v5, v9
	v_cmp_lt_f32_e64 s[2:3], v4, v8
	s_and_b64 s[12:13], s[34:35], vcc
	s_and_b64 s[2:3], s[30:31], s[2:3]
	s_mov_b32 s21, s11
	v_cndmask_b32_e64 v9, 0, 1, s[2:3]
	s_add_u32 s2, s8, s22
	v_cndmask_b32_e64 v8, 0, 1, s[12:13]
	s_addc_u32 s3, s9, s23
	s_lshl_b64 s[12:13], s[20:21], 3
	s_add_u32 s12, s8, s12
	s_addc_u32 s13, s9, s13
	s_load_dwordx2 s[20:21], s[2:3], 0x0
	s_mov_b32 s18, s16
	s_load_dwordx2 s[12:13], s[12:13], 0x0
	v_cmp_gt_f32_e64 s[0:1], s17, v2
	v_xor_b32_e32 v12, v7, v8
	s_waitcnt lgkmcnt(0)
	s_mov_b32 s16, s20
	s_mov_b32 s19, s20
	;; [unrolled: 1-line block ×6, first 2 shown]
	v_xor_b32_e32 v13, v6, v9
	v_mov_b64_e32 v[6:7], s[16:17]
	v_mov_b64_e32 v[8:9], s[22:23]
	v_cmp_gt_f32_e32 vcc, s21, v2
	v_pk_add_f32 v[6:7], s[18:19], v[6:7] neg_lo:[0,1] neg_hi:[0,1]
	v_pk_add_f32 v[8:9], s[20:21], v[8:9] neg_lo:[0,1] neg_hi:[0,1]
	s_xor_b64 s[26:27], vcc, s[0:1]
	v_div_scale_f32 v14, s[0:1], v9, v9, v7
	v_div_scale_f32 v16, s[0:1], v8, v8, v6
	v_rcp_f32_e32 v18, v14
	v_rcp_f32_e32 v19, v16
	v_cmp_gt_f32_e64 s[2:3], s21, v3
	v_cmp_gt_f32_e32 vcc, s13, v3
	v_fma_f32 v20, -v14, v18, 1.0
	s_xor_b64 s[2:3], vcc, s[2:3]
	v_div_scale_f32 v15, vcc, v7, v9, v7
	v_fma_f32 v21, -v16, v19, 1.0
	v_fmac_f32_e32 v18, v20, v18
	v_div_scale_f32 v17, s[0:1], v6, v8, v6
	v_fmac_f32_e32 v19, v21, v19
	v_mul_f32_e32 v20, v15, v18
	v_mul_f32_e32 v21, v17, v19
	v_fma_f32 v22, -v14, v20, v15
	v_fma_f32 v23, -v16, v21, v17
	v_fmac_f32_e32 v20, v22, v18
	v_fmac_f32_e32 v21, v23, v19
	v_fma_f32 v14, -v14, v20, v15
	v_fma_f32 v15, -v16, v21, v17
	v_div_fmas_f32 v14, v14, v18, v20
	s_mov_b64 vcc, s[0:1]
	v_div_fixup_f32 v7, v14, v9, v7
	v_div_fmas_f32 v9, v15, v19, v21
	v_pk_add_f32 v[10:11], v[2:3], s[22:23] neg_lo:[0,1] neg_hi:[0,1]
	v_div_fixup_f32 v6, v9, v8, v6
	v_pk_fma_f32 v[6:7], v[10:11], v[6:7], s[16:17]
	s_add_i32 s10, s10, 4
	v_cmp_lt_f32_e32 vcc, v5, v7
	v_cmp_lt_f32_e64 s[0:1], v4, v6
	s_and_b64 s[2:3], s[2:3], vcc
	s_and_b64 s[0:1], s[26:27], s[0:1]
	s_add_i32 s6, s6, 4
	s_add_i32 s24, s24, -4
	v_cndmask_b32_e64 v6, 0, 1, s[2:3]
	v_cndmask_b32_e64 v8, 0, 1, s[0:1]
	s_mov_b32 s14, s13
	v_xor_b32_e32 v7, v12, v6
	s_cmp_lg_u32 s24, 0
	v_xor_b32_e32 v6, v13, v8
	s_cbranch_scc1 .LBB1_2
; %bb.3:
	v_xor_b32_e32 v2, v6, v7
	v_lshl_add_u64 v[0:1], v[0:1], 2, s[4:5]
	global_store_dword v[0:1], v2, off
.LBB1_4:
	s_endpgm
	.section	.rodata,"a",@progbits
	.p2align	6, 0x0
	.amdhsa_kernel _Z10pnpoly_optILi1EEvPiPK15HIP_vector_typeIfLj2EES4_i
		.amdhsa_group_segment_fixed_size 0
		.amdhsa_private_segment_fixed_size 0
		.amdhsa_kernarg_size 28
		.amdhsa_user_sgpr_count 2
		.amdhsa_user_sgpr_dispatch_ptr 0
		.amdhsa_user_sgpr_queue_ptr 0
		.amdhsa_user_sgpr_kernarg_segment_ptr 1
		.amdhsa_user_sgpr_dispatch_id 0
		.amdhsa_user_sgpr_kernarg_preload_length 0
		.amdhsa_user_sgpr_kernarg_preload_offset 0
		.amdhsa_user_sgpr_private_segment_size 0
		.amdhsa_uses_dynamic_stack 0
		.amdhsa_enable_private_segment 0
		.amdhsa_system_sgpr_workgroup_id_x 1
		.amdhsa_system_sgpr_workgroup_id_y 0
		.amdhsa_system_sgpr_workgroup_id_z 0
		.amdhsa_system_sgpr_workgroup_info 0
		.amdhsa_system_vgpr_workitem_id 0
		.amdhsa_next_free_vgpr 24
		.amdhsa_next_free_sgpr 36
		.amdhsa_accum_offset 24
		.amdhsa_reserve_vcc 1
		.amdhsa_float_round_mode_32 0
		.amdhsa_float_round_mode_16_64 0
		.amdhsa_float_denorm_mode_32 3
		.amdhsa_float_denorm_mode_16_64 3
		.amdhsa_dx10_clamp 1
		.amdhsa_ieee_mode 1
		.amdhsa_fp16_overflow 0
		.amdhsa_tg_split 0
		.amdhsa_exception_fp_ieee_invalid_op 0
		.amdhsa_exception_fp_denorm_src 0
		.amdhsa_exception_fp_ieee_div_zero 0
		.amdhsa_exception_fp_ieee_overflow 0
		.amdhsa_exception_fp_ieee_underflow 0
		.amdhsa_exception_fp_ieee_inexact 0
		.amdhsa_exception_int_div_zero 0
	.end_amdhsa_kernel
	.section	.text._Z10pnpoly_optILi1EEvPiPK15HIP_vector_typeIfLj2EES4_i,"axG",@progbits,_Z10pnpoly_optILi1EEvPiPK15HIP_vector_typeIfLj2EES4_i,comdat
.Lfunc_end1:
	.size	_Z10pnpoly_optILi1EEvPiPK15HIP_vector_typeIfLj2EES4_i, .Lfunc_end1-_Z10pnpoly_optILi1EEvPiPK15HIP_vector_typeIfLj2EES4_i
                                        ; -- End function
	.set _Z10pnpoly_optILi1EEvPiPK15HIP_vector_typeIfLj2EES4_i.num_vgpr, 24
	.set _Z10pnpoly_optILi1EEvPiPK15HIP_vector_typeIfLj2EES4_i.num_agpr, 0
	.set _Z10pnpoly_optILi1EEvPiPK15HIP_vector_typeIfLj2EES4_i.numbered_sgpr, 36
	.set _Z10pnpoly_optILi1EEvPiPK15HIP_vector_typeIfLj2EES4_i.num_named_barrier, 0
	.set _Z10pnpoly_optILi1EEvPiPK15HIP_vector_typeIfLj2EES4_i.private_seg_size, 0
	.set _Z10pnpoly_optILi1EEvPiPK15HIP_vector_typeIfLj2EES4_i.uses_vcc, 1
	.set _Z10pnpoly_optILi1EEvPiPK15HIP_vector_typeIfLj2EES4_i.uses_flat_scratch, 0
	.set _Z10pnpoly_optILi1EEvPiPK15HIP_vector_typeIfLj2EES4_i.has_dyn_sized_stack, 0
	.set _Z10pnpoly_optILi1EEvPiPK15HIP_vector_typeIfLj2EES4_i.has_recursion, 0
	.set _Z10pnpoly_optILi1EEvPiPK15HIP_vector_typeIfLj2EES4_i.has_indirect_call, 0
	.section	.AMDGPU.csdata,"",@progbits
; Kernel info:
; codeLenInByte = 864
; TotalNumSgprs: 42
; NumVgprs: 24
; NumAgprs: 0
; TotalNumVgprs: 24
; ScratchSize: 0
; MemoryBound: 0
; FloatMode: 240
; IeeeMode: 1
; LDSByteSize: 0 bytes/workgroup (compile time only)
; SGPRBlocks: 5
; VGPRBlocks: 2
; NumSGPRsForWavesPerEU: 42
; NumVGPRsForWavesPerEU: 24
; AccumOffset: 24
; Occupancy: 8
; WaveLimiterHint : 0
; COMPUTE_PGM_RSRC2:SCRATCH_EN: 0
; COMPUTE_PGM_RSRC2:USER_SGPR: 2
; COMPUTE_PGM_RSRC2:TRAP_HANDLER: 0
; COMPUTE_PGM_RSRC2:TGID_X_EN: 1
; COMPUTE_PGM_RSRC2:TGID_Y_EN: 0
; COMPUTE_PGM_RSRC2:TGID_Z_EN: 0
; COMPUTE_PGM_RSRC2:TIDIG_COMP_CNT: 0
; COMPUTE_PGM_RSRC3_GFX90A:ACCUM_OFFSET: 5
; COMPUTE_PGM_RSRC3_GFX90A:TG_SPLIT: 0
	.section	.text._Z10pnpoly_optILi2EEvPiPK15HIP_vector_typeIfLj2EES4_i,"axG",@progbits,_Z10pnpoly_optILi2EEvPiPK15HIP_vector_typeIfLj2EES4_i,comdat
	.protected	_Z10pnpoly_optILi2EEvPiPK15HIP_vector_typeIfLj2EES4_i ; -- Begin function _Z10pnpoly_optILi2EEvPiPK15HIP_vector_typeIfLj2EES4_i
	.globl	_Z10pnpoly_optILi2EEvPiPK15HIP_vector_typeIfLj2EES4_i
	.p2align	8
	.type	_Z10pnpoly_optILi2EEvPiPK15HIP_vector_typeIfLj2EES4_i,@function
_Z10pnpoly_optILi2EEvPiPK15HIP_vector_typeIfLj2EES4_i: ; @_Z10pnpoly_optILi2EEvPiPK15HIP_vector_typeIfLj2EES4_i
; %bb.0:
	s_load_dword s3, s[0:1], 0x18
	v_lshl_add_u32 v0, s2, 9, v0
	s_waitcnt lgkmcnt(0)
	v_cmp_gt_i32_e32 vcc, s3, v0
	s_and_saveexec_b64 s[4:5], vcc
	s_cbranch_execz .LBB2_15
; %bb.1:
	s_load_dwordx4 s[4:7], s[0:1], 0x0
	s_load_dwordx2 s[8:9], s[0:1], 0x10
	v_ashrrev_i32_e32 v1, 31, v0
	v_add_u32_e32 v4, 0x100, v0
	v_cmp_gt_i32_e64 s[0:1], s3, v4
	s_waitcnt lgkmcnt(0)
	v_lshl_add_u64 v[6:7], v[0:1], 3, s[6:7]
	global_load_dwordx2 v[2:3], v[6:7], off
                                        ; implicit-def: $vgpr4
	s_and_saveexec_b64 s[2:3], s[0:1]
	s_cbranch_execz .LBB2_3
; %bb.2:
	global_load_dwordx2 v[4:5], v[6:7], off offset:2048
.LBB2_3:
	s_or_b64 exec, exec, s[2:3]
	s_load_dwordx2 s[10:11], s[8:9], 0x12b8
	v_mov_b32_e32 v6, 0
	v_mov_b32_e32 v7, v6
	s_mov_b64 s[6:7], 0
	s_branch .LBB2_6
.LBB2_4:                                ;   in Loop: Header=BB2_6 Depth=1
	s_or_b64 exec, exec, s[14:15]
.LBB2_5:                                ;   in Loop: Header=BB2_6 Depth=1
	s_or_b64 exec, exec, s[2:3]
	v_cmp_gt_f32_e32 vcc, s11, v5
	v_cmp_ngt_f32_e64 s[2:3], s13, v5
	v_subrev_f32_e32 v9, s11, v5
	s_xor_b64 s[2:3], vcc, s[2:3]
	v_fma_f32 v8, v8, v9, s10
	s_xor_b64 s[12:13], s[2:3], -1
	v_cmp_lt_f32_e32 vcc, v4, v8
	s_and_b64 vcc, s[12:13], vcc
	v_cmp_eq_u32_e64 s[2:3], 0, v7
	s_add_u32 s6, s6, 16
	s_addc_u32 s7, s7, 0
	v_cndmask_b32_e64 v8, 0, 1, s[2:3]
	s_cmpk_lg_i32 s6, 0x12c0
	v_cndmask_b32_e32 v7, v7, v8, vcc
	s_cbranch_scc0 .LBB2_13
.LBB2_6:                                ; =>This Inner Loop Header: Depth=1
	s_add_u32 s14, s8, s6
	s_addc_u32 s15, s9, s7
	s_load_dwordx2 s[12:13], s[14:15], 0x0
	s_waitcnt vmcnt(0) lgkmcnt(0)
	v_cmp_ngt_f32_e32 vcc, s11, v3
	v_mov_b64_e32 v[8:9], s[12:13]
	v_pk_add_f32 v[8:9], s[10:11], v[8:9] neg_lo:[0,1] neg_hi:[0,1]
	v_cmp_gt_f32_e64 s[2:3], s13, v3
	v_div_scale_f32 v10, s[16:17], v9, v9, v8
	v_rcp_f32_e32 v11, v10
	s_xor_b64 s[2:3], s[2:3], vcc
	v_div_scale_f32 v12, vcc, v8, v9, v8
	v_fma_f32 v13, -v10, v11, 1.0
	v_fmac_f32_e32 v11, v13, v11
	v_mul_f32_e32 v13, v12, v11
	v_fma_f32 v14, -v10, v13, v12
	v_fmac_f32_e32 v13, v14, v11
	v_fma_f32 v10, -v10, v13, v12
	v_div_fmas_f32 v10, v10, v11, v13
	v_div_fixup_f32 v8, v10, v9, v8
	s_xor_b64 s[16:17], s[2:3], -1
	s_and_saveexec_b64 s[2:3], s[16:17]
	s_cbranch_execz .LBB2_10
; %bb.7:                                ;   in Loop: Header=BB2_6 Depth=1
	v_subrev_f32_e32 v9, s13, v3
	v_fma_f32 v9, v8, v9, s12
	v_cmp_lt_f32_e32 vcc, v2, v9
	s_and_saveexec_b64 s[16:17], vcc
; %bb.8:                                ;   in Loop: Header=BB2_6 Depth=1
	v_cmp_eq_u32_e32 vcc, 0, v6
	s_nop 1
	v_cndmask_b32_e64 v6, 0, 1, vcc
; %bb.9:                                ;   in Loop: Header=BB2_6 Depth=1
	s_or_b64 exec, exec, s[16:17]
.LBB2_10:                               ;   in Loop: Header=BB2_6 Depth=1
	s_or_b64 exec, exec, s[2:3]
	v_cmp_ngt_f32_e64 s[2:3], s11, v5
	s_load_dwordx2 s[10:11], s[14:15], 0x8
	v_subrev_f32_e32 v9, s13, v5
	v_cmp_gt_f32_e32 vcc, s13, v5
	v_fma_f32 v8, v8, v9, s12
	s_xor_b64 s[2:3], vcc, s[2:3]
	v_cmp_lt_f32_e32 vcc, v4, v8
	s_waitcnt lgkmcnt(0)
	v_mov_b64_e32 v[8:9], s[10:11]
	v_pk_add_f32 v[8:9], s[12:13], v[8:9] neg_lo:[0,1] neg_hi:[0,1]
	s_xor_b64 s[14:15], s[2:3], -1
	v_div_scale_f32 v10, s[2:3], v9, v9, v8
	v_rcp_f32_e32 v11, v10
	v_cmp_eq_u32_e64 s[2:3], 0, v7
	s_and_b64 vcc, s[14:15], vcc
	s_nop 0
	v_cndmask_b32_e64 v12, 0, 1, s[2:3]
	v_cndmask_b32_e32 v7, v7, v12, vcc
	v_fma_f32 v12, -v10, v11, 1.0
	v_fmac_f32_e32 v11, v12, v11
	v_div_scale_f32 v12, vcc, v8, v9, v8
	v_mul_f32_e32 v13, v12, v11
	v_fma_f32 v14, -v10, v13, v12
	v_fmac_f32_e32 v13, v14, v11
	v_fma_f32 v10, -v10, v13, v12
	v_div_fmas_f32 v10, v10, v11, v13
	v_cmp_gt_f32_e32 vcc, s11, v3
	v_cmp_ngt_f32_e64 s[2:3], s13, v3
	s_xor_b64 s[2:3], vcc, s[2:3]
	v_div_fixup_f32 v8, v10, v9, v8
	s_xor_b64 s[14:15], s[2:3], -1
	s_and_saveexec_b64 s[2:3], s[14:15]
	s_cbranch_execz .LBB2_5
; %bb.11:                               ;   in Loop: Header=BB2_6 Depth=1
	v_subrev_f32_e32 v9, s11, v3
	v_fma_f32 v9, v8, v9, s10
	v_cmp_lt_f32_e32 vcc, v2, v9
	s_and_saveexec_b64 s[14:15], vcc
	s_cbranch_execz .LBB2_4
; %bb.12:                               ;   in Loop: Header=BB2_6 Depth=1
	v_cmp_eq_u32_e32 vcc, 0, v6
	s_nop 1
	v_cndmask_b32_e64 v6, 0, 1, vcc
	s_branch .LBB2_4
.LBB2_13:
	v_lshl_add_u64 v[0:1], v[0:1], 2, s[4:5]
	global_store_dword v[0:1], v6, off
	s_and_b64 exec, exec, s[0:1]
	s_cbranch_execz .LBB2_15
; %bb.14:
	global_store_dword v[0:1], v7, off offset:1024
.LBB2_15:
	s_endpgm
	.section	.rodata,"a",@progbits
	.p2align	6, 0x0
	.amdhsa_kernel _Z10pnpoly_optILi2EEvPiPK15HIP_vector_typeIfLj2EES4_i
		.amdhsa_group_segment_fixed_size 0
		.amdhsa_private_segment_fixed_size 0
		.amdhsa_kernarg_size 28
		.amdhsa_user_sgpr_count 2
		.amdhsa_user_sgpr_dispatch_ptr 0
		.amdhsa_user_sgpr_queue_ptr 0
		.amdhsa_user_sgpr_kernarg_segment_ptr 1
		.amdhsa_user_sgpr_dispatch_id 0
		.amdhsa_user_sgpr_kernarg_preload_length 0
		.amdhsa_user_sgpr_kernarg_preload_offset 0
		.amdhsa_user_sgpr_private_segment_size 0
		.amdhsa_uses_dynamic_stack 0
		.amdhsa_enable_private_segment 0
		.amdhsa_system_sgpr_workgroup_id_x 1
		.amdhsa_system_sgpr_workgroup_id_y 0
		.amdhsa_system_sgpr_workgroup_id_z 0
		.amdhsa_system_sgpr_workgroup_info 0
		.amdhsa_system_vgpr_workitem_id 0
		.amdhsa_next_free_vgpr 15
		.amdhsa_next_free_sgpr 18
		.amdhsa_accum_offset 16
		.amdhsa_reserve_vcc 1
		.amdhsa_float_round_mode_32 0
		.amdhsa_float_round_mode_16_64 0
		.amdhsa_float_denorm_mode_32 3
		.amdhsa_float_denorm_mode_16_64 3
		.amdhsa_dx10_clamp 1
		.amdhsa_ieee_mode 1
		.amdhsa_fp16_overflow 0
		.amdhsa_tg_split 0
		.amdhsa_exception_fp_ieee_invalid_op 0
		.amdhsa_exception_fp_denorm_src 0
		.amdhsa_exception_fp_ieee_div_zero 0
		.amdhsa_exception_fp_ieee_overflow 0
		.amdhsa_exception_fp_ieee_underflow 0
		.amdhsa_exception_fp_ieee_inexact 0
		.amdhsa_exception_int_div_zero 0
	.end_amdhsa_kernel
	.section	.text._Z10pnpoly_optILi2EEvPiPK15HIP_vector_typeIfLj2EES4_i,"axG",@progbits,_Z10pnpoly_optILi2EEvPiPK15HIP_vector_typeIfLj2EES4_i,comdat
.Lfunc_end2:
	.size	_Z10pnpoly_optILi2EEvPiPK15HIP_vector_typeIfLj2EES4_i, .Lfunc_end2-_Z10pnpoly_optILi2EEvPiPK15HIP_vector_typeIfLj2EES4_i
                                        ; -- End function
	.set _Z10pnpoly_optILi2EEvPiPK15HIP_vector_typeIfLj2EES4_i.num_vgpr, 15
	.set _Z10pnpoly_optILi2EEvPiPK15HIP_vector_typeIfLj2EES4_i.num_agpr, 0
	.set _Z10pnpoly_optILi2EEvPiPK15HIP_vector_typeIfLj2EES4_i.numbered_sgpr, 18
	.set _Z10pnpoly_optILi2EEvPiPK15HIP_vector_typeIfLj2EES4_i.num_named_barrier, 0
	.set _Z10pnpoly_optILi2EEvPiPK15HIP_vector_typeIfLj2EES4_i.private_seg_size, 0
	.set _Z10pnpoly_optILi2EEvPiPK15HIP_vector_typeIfLj2EES4_i.uses_vcc, 1
	.set _Z10pnpoly_optILi2EEvPiPK15HIP_vector_typeIfLj2EES4_i.uses_flat_scratch, 0
	.set _Z10pnpoly_optILi2EEvPiPK15HIP_vector_typeIfLj2EES4_i.has_dyn_sized_stack, 0
	.set _Z10pnpoly_optILi2EEvPiPK15HIP_vector_typeIfLj2EES4_i.has_recursion, 0
	.set _Z10pnpoly_optILi2EEvPiPK15HIP_vector_typeIfLj2EES4_i.has_indirect_call, 0
	.section	.AMDGPU.csdata,"",@progbits
; Kernel info:
; codeLenInByte = 660
; TotalNumSgprs: 24
; NumVgprs: 15
; NumAgprs: 0
; TotalNumVgprs: 15
; ScratchSize: 0
; MemoryBound: 0
; FloatMode: 240
; IeeeMode: 1
; LDSByteSize: 0 bytes/workgroup (compile time only)
; SGPRBlocks: 2
; VGPRBlocks: 1
; NumSGPRsForWavesPerEU: 24
; NumVGPRsForWavesPerEU: 15
; AccumOffset: 16
; Occupancy: 8
; WaveLimiterHint : 0
; COMPUTE_PGM_RSRC2:SCRATCH_EN: 0
; COMPUTE_PGM_RSRC2:USER_SGPR: 2
; COMPUTE_PGM_RSRC2:TRAP_HANDLER: 0
; COMPUTE_PGM_RSRC2:TGID_X_EN: 1
; COMPUTE_PGM_RSRC2:TGID_Y_EN: 0
; COMPUTE_PGM_RSRC2:TGID_Z_EN: 0
; COMPUTE_PGM_RSRC2:TIDIG_COMP_CNT: 0
; COMPUTE_PGM_RSRC3_GFX90A:ACCUM_OFFSET: 3
; COMPUTE_PGM_RSRC3_GFX90A:TG_SPLIT: 0
	.section	.text._Z10pnpoly_optILi4EEvPiPK15HIP_vector_typeIfLj2EES4_i,"axG",@progbits,_Z10pnpoly_optILi4EEvPiPK15HIP_vector_typeIfLj2EES4_i,comdat
	.protected	_Z10pnpoly_optILi4EEvPiPK15HIP_vector_typeIfLj2EES4_i ; -- Begin function _Z10pnpoly_optILi4EEvPiPK15HIP_vector_typeIfLj2EES4_i
	.globl	_Z10pnpoly_optILi4EEvPiPK15HIP_vector_typeIfLj2EES4_i
	.p2align	8
	.type	_Z10pnpoly_optILi4EEvPiPK15HIP_vector_typeIfLj2EES4_i,@function
_Z10pnpoly_optILi4EEvPiPK15HIP_vector_typeIfLj2EES4_i: ; @_Z10pnpoly_optILi4EEvPiPK15HIP_vector_typeIfLj2EES4_i
; %bb.0:
	s_load_dword s12, s[0:1], 0x18
	v_lshl_or_b32 v4, s2, 10, v0
	s_waitcnt lgkmcnt(0)
	v_cmp_gt_i32_e32 vcc, s12, v4
	s_and_saveexec_b64 s[2:3], vcc
	s_cbranch_execz .LBB3_17
; %bb.1:
	s_load_dwordx2 s[2:3], s[0:1], 0x8
	v_ashrrev_i32_e32 v5, 31, v4
	v_add_u32_e32 v2, 0x100, v4
	v_cmp_gt_i32_e64 s[6:7], s12, v2
                                        ; implicit-def: $vgpr8
	s_waitcnt lgkmcnt(0)
	v_lshl_add_u64 v[0:1], v[4:5], 3, s[2:3]
	global_load_dwordx2 v[6:7], v[0:1], off
	s_and_saveexec_b64 s[2:3], s[6:7]
	s_cbranch_execz .LBB3_3
; %bb.2:
	global_load_dwordx2 v[8:9], v[0:1], off offset:2048
.LBB3_3:
	s_or_b64 exec, exec, s[2:3]
	s_load_dwordx2 s[8:9], s[0:1], 0x10
	v_add_u32_e32 v2, 0x200, v4
	v_cmp_gt_i32_e64 s[2:3], s12, v2
                                        ; implicit-def: $vgpr10
	s_and_saveexec_b64 s[4:5], s[2:3]
	s_cbranch_execz .LBB3_5
; %bb.4:
	v_add_co_u32_e32 v2, vcc, 0x1000, v0
	s_nop 1
	v_addc_co_u32_e32 v3, vcc, 0, v1, vcc
	global_load_dwordx2 v[10:11], v[2:3], off
.LBB3_5:
	s_or_b64 exec, exec, s[4:5]
	s_load_dwordx2 s[10:11], s[0:1], 0x0
	v_add_u32_e32 v2, 0x300, v4
	v_cmp_gt_i32_e64 s[4:5], s12, v2
                                        ; implicit-def: $vgpr12
	s_and_saveexec_b64 s[0:1], s[4:5]
	s_cbranch_execz .LBB3_7
; %bb.6:
	v_add_co_u32_e32 v0, vcc, 0x1000, v0
	s_nop 1
	v_addc_co_u32_e32 v1, vcc, 0, v1, vcc
	global_load_dwordx2 v[12:13], v[0:1], off offset:2048
.LBB3_7:
	s_or_b64 exec, exec, s[0:1]
	s_waitcnt lgkmcnt(0)
	s_load_dwordx2 s[16:17], s[8:9], 0x12b8
	v_mov_b32_e32 v0, 0
	v_mov_b32_e32 v1, v0
	;; [unrolled: 1-line block ×4, first 2 shown]
	s_mov_b64 s[12:13], 0
	s_branch .LBB3_10
.LBB3_8:                                ;   in Loop: Header=BB3_10 Depth=1
	s_or_b64 exec, exec, s[18:19]
.LBB3_9:                                ;   in Loop: Header=BB3_10 Depth=1
	s_or_b64 exec, exec, s[0:1]
	v_cmp_gt_f32_e32 vcc, s15, v9
	v_cmp_ngt_f32_e64 s[0:1], s17, v9
	v_subrev_f32_e32 v15, s15, v9
	s_xor_b64 s[0:1], vcc, s[0:1]
	v_fma_f32 v15, v14, v15, s14
	s_xor_b64 s[18:19], s[0:1], -1
	v_cmp_lt_f32_e32 vcc, v8, v15
	v_cmp_eq_u32_e64 s[0:1], 0, v1
	s_and_b64 vcc, s[18:19], vcc
	s_nop 0
	v_cndmask_b32_e64 v15, 0, 1, s[0:1]
	v_cndmask_b32_e32 v1, v1, v15, vcc
	v_cmp_gt_f32_e32 vcc, s15, v11
	v_cmp_ngt_f32_e64 s[0:1], s17, v11
	v_subrev_f32_e32 v15, s15, v11
	s_xor_b64 s[0:1], vcc, s[0:1]
	v_fma_f32 v15, v14, v15, s14
	s_xor_b64 s[18:19], s[0:1], -1
	v_cmp_lt_f32_e32 vcc, v10, v15
	v_cmp_eq_u32_e64 s[0:1], 0, v2
	s_and_b64 vcc, s[18:19], vcc
	s_nop 0
	v_cndmask_b32_e64 v15, 0, 1, s[0:1]
	v_cndmask_b32_e32 v2, v2, v15, vcc
	v_cmp_gt_f32_e32 vcc, s15, v13
	v_cmp_ngt_f32_e64 s[0:1], s17, v13
	v_subrev_f32_e32 v15, s15, v13
	s_xor_b64 s[0:1], vcc, s[0:1]
	v_fma_f32 v14, v14, v15, s14
	s_xor_b64 s[16:17], s[0:1], -1
	v_cmp_lt_f32_e32 vcc, v12, v14
	s_and_b64 vcc, s[16:17], vcc
	v_cmp_eq_u32_e64 s[0:1], 0, v3
	s_add_u32 s12, s12, 8
	s_addc_u32 s13, s13, 0
	v_cndmask_b32_e64 v14, 0, 1, s[0:1]
	v_cndmask_b32_e32 v3, v3, v14, vcc
	s_cmpk_lg_i32 s12, 0x12c0
	s_mov_b64 s[16:17], s[14:15]
	s_cbranch_scc0 .LBB3_13
.LBB3_10:                               ; =>This Inner Loop Header: Depth=1
	s_add_u32 s0, s8, s12
	s_addc_u32 s1, s9, s13
	s_load_dwordx2 s[14:15], s[0:1], 0x0
	s_waitcnt vmcnt(0) lgkmcnt(0)
	v_cmp_ngt_f32_e32 vcc, s17, v7
	v_mov_b64_e32 v[14:15], s[14:15]
	v_pk_add_f32 v[14:15], s[16:17], v[14:15] neg_lo:[0,1] neg_hi:[0,1]
	v_cmp_gt_f32_e64 s[0:1], s15, v7
	v_div_scale_f32 v16, s[18:19], v15, v15, v14
	v_rcp_f32_e32 v17, v16
	s_xor_b64 s[0:1], s[0:1], vcc
	v_div_scale_f32 v18, vcc, v14, v15, v14
	v_fma_f32 v19, -v16, v17, 1.0
	v_fmac_f32_e32 v17, v19, v17
	v_mul_f32_e32 v19, v18, v17
	v_fma_f32 v20, -v16, v19, v18
	v_fmac_f32_e32 v19, v20, v17
	v_fma_f32 v16, -v16, v19, v18
	v_div_fmas_f32 v16, v16, v17, v19
	v_div_fixup_f32 v14, v16, v15, v14
	s_xor_b64 s[18:19], s[0:1], -1
	s_and_saveexec_b64 s[0:1], s[18:19]
	s_cbranch_execz .LBB3_9
; %bb.11:                               ;   in Loop: Header=BB3_10 Depth=1
	v_subrev_f32_e32 v15, s15, v7
	v_fma_f32 v15, v14, v15, s14
	v_cmp_lt_f32_e32 vcc, v6, v15
	s_and_saveexec_b64 s[18:19], vcc
	s_cbranch_execz .LBB3_8
; %bb.12:                               ;   in Loop: Header=BB3_10 Depth=1
	v_cmp_eq_u32_e32 vcc, 0, v0
	s_nop 1
	v_cndmask_b32_e64 v0, 0, 1, vcc
	s_branch .LBB3_8
.LBB3_13:
	v_lshl_add_u64 v[4:5], v[4:5], 2, s[10:11]
	global_store_dword v[4:5], v0, off
	s_and_saveexec_b64 s[0:1], s[6:7]
	s_cbranch_execnz .LBB3_18
; %bb.14:
	s_or_b64 exec, exec, s[0:1]
	s_and_saveexec_b64 s[0:1], s[2:3]
	s_cbranch_execnz .LBB3_19
.LBB3_15:
	s_or_b64 exec, exec, s[0:1]
	s_and_b64 exec, exec, s[4:5]
	s_cbranch_execz .LBB3_17
.LBB3_16:
	global_store_dword v[4:5], v3, off offset:3072
.LBB3_17:
	s_endpgm
.LBB3_18:
	global_store_dword v[4:5], v1, off offset:1024
	s_or_b64 exec, exec, s[0:1]
	s_and_saveexec_b64 s[0:1], s[2:3]
	s_cbranch_execz .LBB3_15
.LBB3_19:
	global_store_dword v[4:5], v2, off offset:2048
	s_or_b64 exec, exec, s[0:1]
	s_and_b64 exec, exec, s[4:5]
	s_cbranch_execnz .LBB3_16
	s_branch .LBB3_17
	.section	.rodata,"a",@progbits
	.p2align	6, 0x0
	.amdhsa_kernel _Z10pnpoly_optILi4EEvPiPK15HIP_vector_typeIfLj2EES4_i
		.amdhsa_group_segment_fixed_size 0
		.amdhsa_private_segment_fixed_size 0
		.amdhsa_kernarg_size 28
		.amdhsa_user_sgpr_count 2
		.amdhsa_user_sgpr_dispatch_ptr 0
		.amdhsa_user_sgpr_queue_ptr 0
		.amdhsa_user_sgpr_kernarg_segment_ptr 1
		.amdhsa_user_sgpr_dispatch_id 0
		.amdhsa_user_sgpr_kernarg_preload_length 0
		.amdhsa_user_sgpr_kernarg_preload_offset 0
		.amdhsa_user_sgpr_private_segment_size 0
		.amdhsa_uses_dynamic_stack 0
		.amdhsa_enable_private_segment 0
		.amdhsa_system_sgpr_workgroup_id_x 1
		.amdhsa_system_sgpr_workgroup_id_y 0
		.amdhsa_system_sgpr_workgroup_id_z 0
		.amdhsa_system_sgpr_workgroup_info 0
		.amdhsa_system_vgpr_workitem_id 0
		.amdhsa_next_free_vgpr 21
		.amdhsa_next_free_sgpr 20
		.amdhsa_accum_offset 24
		.amdhsa_reserve_vcc 1
		.amdhsa_float_round_mode_32 0
		.amdhsa_float_round_mode_16_64 0
		.amdhsa_float_denorm_mode_32 3
		.amdhsa_float_denorm_mode_16_64 3
		.amdhsa_dx10_clamp 1
		.amdhsa_ieee_mode 1
		.amdhsa_fp16_overflow 0
		.amdhsa_tg_split 0
		.amdhsa_exception_fp_ieee_invalid_op 0
		.amdhsa_exception_fp_denorm_src 0
		.amdhsa_exception_fp_ieee_div_zero 0
		.amdhsa_exception_fp_ieee_overflow 0
		.amdhsa_exception_fp_ieee_underflow 0
		.amdhsa_exception_fp_ieee_inexact 0
		.amdhsa_exception_int_div_zero 0
	.end_amdhsa_kernel
	.section	.text._Z10pnpoly_optILi4EEvPiPK15HIP_vector_typeIfLj2EES4_i,"axG",@progbits,_Z10pnpoly_optILi4EEvPiPK15HIP_vector_typeIfLj2EES4_i,comdat
.Lfunc_end3:
	.size	_Z10pnpoly_optILi4EEvPiPK15HIP_vector_typeIfLj2EES4_i, .Lfunc_end3-_Z10pnpoly_optILi4EEvPiPK15HIP_vector_typeIfLj2EES4_i
                                        ; -- End function
	.set _Z10pnpoly_optILi4EEvPiPK15HIP_vector_typeIfLj2EES4_i.num_vgpr, 21
	.set _Z10pnpoly_optILi4EEvPiPK15HIP_vector_typeIfLj2EES4_i.num_agpr, 0
	.set _Z10pnpoly_optILi4EEvPiPK15HIP_vector_typeIfLj2EES4_i.numbered_sgpr, 20
	.set _Z10pnpoly_optILi4EEvPiPK15HIP_vector_typeIfLj2EES4_i.num_named_barrier, 0
	.set _Z10pnpoly_optILi4EEvPiPK15HIP_vector_typeIfLj2EES4_i.private_seg_size, 0
	.set _Z10pnpoly_optILi4EEvPiPK15HIP_vector_typeIfLj2EES4_i.uses_vcc, 1
	.set _Z10pnpoly_optILi4EEvPiPK15HIP_vector_typeIfLj2EES4_i.uses_flat_scratch, 0
	.set _Z10pnpoly_optILi4EEvPiPK15HIP_vector_typeIfLj2EES4_i.has_dyn_sized_stack, 0
	.set _Z10pnpoly_optILi4EEvPiPK15HIP_vector_typeIfLj2EES4_i.has_recursion, 0
	.set _Z10pnpoly_optILi4EEvPiPK15HIP_vector_typeIfLj2EES4_i.has_indirect_call, 0
	.section	.AMDGPU.csdata,"",@progbits
; Kernel info:
; codeLenInByte = 752
; TotalNumSgprs: 26
; NumVgprs: 21
; NumAgprs: 0
; TotalNumVgprs: 21
; ScratchSize: 0
; MemoryBound: 0
; FloatMode: 240
; IeeeMode: 1
; LDSByteSize: 0 bytes/workgroup (compile time only)
; SGPRBlocks: 3
; VGPRBlocks: 2
; NumSGPRsForWavesPerEU: 26
; NumVGPRsForWavesPerEU: 21
; AccumOffset: 24
; Occupancy: 8
; WaveLimiterHint : 0
; COMPUTE_PGM_RSRC2:SCRATCH_EN: 0
; COMPUTE_PGM_RSRC2:USER_SGPR: 2
; COMPUTE_PGM_RSRC2:TRAP_HANDLER: 0
; COMPUTE_PGM_RSRC2:TGID_X_EN: 1
; COMPUTE_PGM_RSRC2:TGID_Y_EN: 0
; COMPUTE_PGM_RSRC2:TGID_Z_EN: 0
; COMPUTE_PGM_RSRC2:TIDIG_COMP_CNT: 0
; COMPUTE_PGM_RSRC3_GFX90A:ACCUM_OFFSET: 5
; COMPUTE_PGM_RSRC3_GFX90A:TG_SPLIT: 0
	.section	.text._Z10pnpoly_optILi8EEvPiPK15HIP_vector_typeIfLj2EES4_i,"axG",@progbits,_Z10pnpoly_optILi8EEvPiPK15HIP_vector_typeIfLj2EES4_i,comdat
	.protected	_Z10pnpoly_optILi8EEvPiPK15HIP_vector_typeIfLj2EES4_i ; -- Begin function _Z10pnpoly_optILi8EEvPiPK15HIP_vector_typeIfLj2EES4_i
	.globl	_Z10pnpoly_optILi8EEvPiPK15HIP_vector_typeIfLj2EES4_i
	.p2align	8
	.type	_Z10pnpoly_optILi8EEvPiPK15HIP_vector_typeIfLj2EES4_i,@function
_Z10pnpoly_optILi8EEvPiPK15HIP_vector_typeIfLj2EES4_i: ; @_Z10pnpoly_optILi8EEvPiPK15HIP_vector_typeIfLj2EES4_i
; %bb.0:
	s_load_dword s16, s[0:1], 0x18
	v_lshl_or_b32 v8, s2, 11, v0
	s_waitcnt lgkmcnt(0)
	v_cmp_gt_i32_e32 vcc, s16, v8
	s_and_saveexec_b64 s[2:3], vcc
	s_cbranch_execz .LBB4_29
; %bb.1:
	s_load_dwordx2 s[8:9], s[0:1], 0x8
	v_ashrrev_i32_e32 v9, 31, v8
	v_add_u32_e32 v2, 0x100, v8
	v_cmp_gt_i32_e64 s[14:15], s16, v2
                                        ; implicit-def: $vgpr12
	s_waitcnt lgkmcnt(0)
	v_lshl_add_u64 v[0:1], v[8:9], 3, s[8:9]
	global_load_dwordx2 v[10:11], v[0:1], off
	s_and_saveexec_b64 s[2:3], s[14:15]
	s_cbranch_execz .LBB4_3
; %bb.2:
	global_load_dwordx2 v[12:13], v[0:1], off offset:2048
.LBB4_3:
	s_or_b64 exec, exec, s[2:3]
	v_add_u32_e32 v2, 0x200, v8
	v_cmp_gt_i32_e64 s[2:3], s16, v2
                                        ; implicit-def: $vgpr14
	s_and_saveexec_b64 s[4:5], s[2:3]
	s_cbranch_execz .LBB4_5
; %bb.4:
	v_add_co_u32_e32 v2, vcc, 0x1000, v0
	s_nop 1
	v_addc_co_u32_e32 v3, vcc, 0, v1, vcc
	global_load_dwordx2 v[14:15], v[2:3], off
.LBB4_5:
	s_or_b64 exec, exec, s[4:5]
	v_add_u32_e32 v2, 0x300, v8
	v_cmp_gt_i32_e64 s[4:5], s16, v2
                                        ; implicit-def: $vgpr18
	s_and_saveexec_b64 s[6:7], s[4:5]
	s_cbranch_execz .LBB4_7
; %bb.6:
	v_add_co_u32_e32 v2, vcc, 0x1000, v0
	s_nop 1
	v_addc_co_u32_e32 v3, vcc, 0, v1, vcc
	global_load_dwordx2 v[18:19], v[2:3], off offset:2048
.LBB4_7:
	s_or_b64 exec, exec, s[6:7]
	v_or_b32_e32 v16, 0x400, v8
	v_cmp_gt_i32_e64 s[6:7], s16, v16
	v_ashrrev_i32_e32 v17, 31, v16
                                        ; implicit-def: $vgpr20
	s_and_saveexec_b64 s[10:11], s[6:7]
	s_cbranch_execz .LBB4_9
; %bb.8:
	v_lshl_add_u64 v[2:3], v[16:17], 3, s[8:9]
	global_load_dwordx2 v[20:21], v[2:3], off
.LBB4_9:
	s_or_b64 exec, exec, s[10:11]
	v_add_u32_e32 v2, 0x500, v8
	v_cmp_gt_i32_e64 s[8:9], s16, v2
                                        ; implicit-def: $vgpr22
	s_and_saveexec_b64 s[10:11], s[8:9]
	s_cbranch_execz .LBB4_11
; %bb.10:
	v_add_co_u32_e32 v2, vcc, 0x2000, v0
	s_nop 1
	v_addc_co_u32_e32 v3, vcc, 0, v1, vcc
	global_load_dwordx2 v[22:23], v[2:3], off offset:2048
.LBB4_11:
	s_or_b64 exec, exec, s[10:11]
	s_load_dwordx2 s[20:21], s[0:1], 0x10
	v_add_u32_e32 v2, 0x600, v8
	v_cmp_gt_i32_e64 s[10:11], s16, v2
                                        ; implicit-def: $vgpr24
	s_and_saveexec_b64 s[12:13], s[10:11]
	s_cbranch_execz .LBB4_13
; %bb.12:
	v_add_co_u32_e32 v2, vcc, 0x3000, v0
	s_nop 1
	v_addc_co_u32_e32 v3, vcc, 0, v1, vcc
	global_load_dwordx2 v[24:25], v[2:3], off
.LBB4_13:
	s_or_b64 exec, exec, s[12:13]
	s_load_dwordx2 s[18:19], s[0:1], 0x0
	v_add_u32_e32 v2, 0x700, v8
	v_cmp_gt_i32_e64 s[12:13], s16, v2
                                        ; implicit-def: $vgpr26
	s_and_saveexec_b64 s[0:1], s[12:13]
	s_cbranch_execz .LBB4_15
; %bb.14:
	v_add_co_u32_e32 v0, vcc, 0x3000, v0
	s_nop 1
	v_addc_co_u32_e32 v1, vcc, 0, v1, vcc
	global_load_dwordx2 v[26:27], v[0:1], off offset:2048
.LBB4_15:
	s_or_b64 exec, exec, s[0:1]
	s_waitcnt lgkmcnt(0)
	s_load_dwordx2 s[26:27], s[20:21], 0x12b8
	v_mov_b32_e32 v0, 0
	v_mov_b32_e32 v1, v0
	v_mov_b32_e32 v2, v0
	v_mov_b32_e32 v3, v0
	v_mov_b32_e32 v4, v0
	v_mov_b32_e32 v5, v0
	v_mov_b32_e32 v6, v0
	s_mov_b64 s[22:23], 0
	v_mov_b32_e32 v7, v0
	s_branch .LBB4_18
.LBB4_16:                               ;   in Loop: Header=BB4_18 Depth=1
	s_or_b64 exec, exec, s[16:17]
.LBB4_17:                               ;   in Loop: Header=BB4_18 Depth=1
	s_or_b64 exec, exec, s[0:1]
	v_subrev_f32_e32 v29, s25, v13
	v_cmp_gt_f32_e64 s[0:1], s25, v13
	v_cmp_ngt_f32_e64 s[16:17], s27, v13
	v_fma_f32 v29, v28, v29, s24
	s_xor_b64 s[0:1], s[0:1], s[16:17]
	v_cmp_lt_f32_e32 vcc, v12, v29
	s_xor_b64 s[16:17], s[0:1], -1
	v_cmp_eq_u32_e64 s[0:1], 0, v1
	s_and_b64 vcc, s[16:17], vcc
	v_cmp_ngt_f32_e64 s[16:17], s27, v15
	v_cndmask_b32_e64 v29, 0, 1, s[0:1]
	v_cndmask_b32_e32 v1, v1, v29, vcc
	v_subrev_f32_e32 v29, s25, v15
	v_cmp_gt_f32_e64 s[0:1], s25, v15
	v_fma_f32 v29, v28, v29, s24
	s_xor_b64 s[0:1], s[0:1], s[16:17]
	v_cmp_lt_f32_e32 vcc, v14, v29
	s_xor_b64 s[16:17], s[0:1], -1
	v_cmp_eq_u32_e64 s[0:1], 0, v2
	s_and_b64 vcc, s[16:17], vcc
	v_cmp_ngt_f32_e64 s[16:17], s27, v19
	v_cndmask_b32_e64 v29, 0, 1, s[0:1]
	v_cndmask_b32_e32 v2, v2, v29, vcc
	v_subrev_f32_e32 v29, s25, v19
	v_cmp_gt_f32_e64 s[0:1], s25, v19
	;; [unrolled: 11-line block ×6, first 2 shown]
	v_fma_f32 v28, v28, v29, s24
	s_xor_b64 s[0:1], s[0:1], s[16:17]
	v_cmp_lt_f32_e32 vcc, v26, v28
	s_xor_b64 s[16:17], s[0:1], -1
	s_and_b64 vcc, s[16:17], vcc
	v_cmp_eq_u32_e64 s[0:1], 0, v7
	s_add_u32 s22, s22, 8
	s_addc_u32 s23, s23, 0
	v_cndmask_b32_e64 v28, 0, 1, s[0:1]
	v_cndmask_b32_e32 v7, v7, v28, vcc
	s_cmpk_lg_i32 s22, 0x12c0
	s_mov_b64 s[26:27], s[24:25]
	s_cbranch_scc0 .LBB4_21
.LBB4_18:                               ; =>This Inner Loop Header: Depth=1
	s_add_u32 s0, s20, s22
	s_addc_u32 s1, s21, s23
	s_load_dwordx2 s[24:25], s[0:1], 0x0
	s_waitcnt vmcnt(0) lgkmcnt(0)
	v_cmp_ngt_f32_e32 vcc, s27, v11
	v_mov_b64_e32 v[28:29], s[24:25]
	v_pk_add_f32 v[28:29], s[26:27], v[28:29] neg_lo:[0,1] neg_hi:[0,1]
	v_cmp_gt_f32_e64 s[0:1], s25, v11
	v_div_scale_f32 v30, s[16:17], v29, v29, v28
	v_rcp_f32_e32 v31, v30
	s_xor_b64 s[0:1], s[0:1], vcc
	v_div_scale_f32 v32, vcc, v28, v29, v28
	v_fma_f32 v33, -v30, v31, 1.0
	v_fmac_f32_e32 v31, v33, v31
	v_mul_f32_e32 v33, v32, v31
	v_fma_f32 v34, -v30, v33, v32
	v_fmac_f32_e32 v33, v34, v31
	v_fma_f32 v30, -v30, v33, v32
	v_div_fmas_f32 v30, v30, v31, v33
	v_div_fixup_f32 v28, v30, v29, v28
	s_xor_b64 s[16:17], s[0:1], -1
	s_and_saveexec_b64 s[0:1], s[16:17]
	s_cbranch_execz .LBB4_17
; %bb.19:                               ;   in Loop: Header=BB4_18 Depth=1
	v_subrev_f32_e32 v29, s25, v11
	v_fma_f32 v29, v28, v29, s24
	v_cmp_lt_f32_e32 vcc, v10, v29
	s_and_saveexec_b64 s[16:17], vcc
	s_cbranch_execz .LBB4_16
; %bb.20:                               ;   in Loop: Header=BB4_18 Depth=1
	v_cmp_eq_u32_e32 vcc, 0, v0
	s_nop 1
	v_cndmask_b32_e64 v0, 0, 1, vcc
	s_branch .LBB4_16
.LBB4_21:
	v_lshl_add_u64 v[8:9], v[8:9], 2, s[18:19]
	global_store_dword v[8:9], v0, off
	s_and_saveexec_b64 s[0:1], s[14:15]
	s_cbranch_execnz .LBB4_30
; %bb.22:
	s_or_b64 exec, exec, s[0:1]
	s_and_saveexec_b64 s[0:1], s[2:3]
	s_cbranch_execnz .LBB4_31
.LBB4_23:
	s_or_b64 exec, exec, s[0:1]
	s_and_saveexec_b64 s[0:1], s[4:5]
	s_cbranch_execnz .LBB4_32
.LBB4_24:
	s_or_b64 exec, exec, s[0:1]
	s_and_saveexec_b64 s[0:1], s[6:7]
	s_cbranch_execnz .LBB4_33
.LBB4_25:
	s_or_b64 exec, exec, s[0:1]
	s_and_saveexec_b64 s[0:1], s[8:9]
	s_cbranch_execnz .LBB4_34
.LBB4_26:
	s_or_b64 exec, exec, s[0:1]
	s_and_saveexec_b64 s[0:1], s[10:11]
	s_cbranch_execnz .LBB4_35
.LBB4_27:
	s_or_b64 exec, exec, s[0:1]
	s_and_b64 exec, exec, s[12:13]
	s_cbranch_execz .LBB4_29
.LBB4_28:
	v_add_co_u32_e32 v0, vcc, 0x1000, v8
	s_nop 1
	v_addc_co_u32_e32 v1, vcc, 0, v9, vcc
	global_store_dword v[0:1], v7, off offset:3072
.LBB4_29:
	s_endpgm
.LBB4_30:
	global_store_dword v[8:9], v1, off offset:1024
	s_or_b64 exec, exec, s[0:1]
	s_and_saveexec_b64 s[0:1], s[2:3]
	s_cbranch_execz .LBB4_23
.LBB4_31:
	global_store_dword v[8:9], v2, off offset:2048
	s_or_b64 exec, exec, s[0:1]
	s_and_saveexec_b64 s[0:1], s[4:5]
	s_cbranch_execz .LBB4_24
.LBB4_32:
	global_store_dword v[8:9], v3, off offset:3072
	s_or_b64 exec, exec, s[0:1]
	s_and_saveexec_b64 s[0:1], s[6:7]
	s_cbranch_execz .LBB4_25
.LBB4_33:
	v_lshl_add_u64 v[0:1], v[16:17], 2, s[18:19]
	global_store_dword v[0:1], v4, off
	s_or_b64 exec, exec, s[0:1]
	s_and_saveexec_b64 s[0:1], s[8:9]
	s_cbranch_execz .LBB4_26
.LBB4_34:
	v_add_co_u32_e32 v0, vcc, 0x1000, v8
	s_nop 1
	v_addc_co_u32_e32 v1, vcc, 0, v9, vcc
	global_store_dword v[0:1], v5, off offset:1024
	s_or_b64 exec, exec, s[0:1]
	s_and_saveexec_b64 s[0:1], s[10:11]
	s_cbranch_execz .LBB4_27
.LBB4_35:
	v_add_co_u32_e32 v0, vcc, 0x1000, v8
	s_nop 1
	v_addc_co_u32_e32 v1, vcc, 0, v9, vcc
	global_store_dword v[0:1], v6, off offset:2048
	s_or_b64 exec, exec, s[0:1]
	s_and_b64 exec, exec, s[12:13]
	s_cbranch_execnz .LBB4_28
	s_branch .LBB4_29
	.section	.rodata,"a",@progbits
	.p2align	6, 0x0
	.amdhsa_kernel _Z10pnpoly_optILi8EEvPiPK15HIP_vector_typeIfLj2EES4_i
		.amdhsa_group_segment_fixed_size 0
		.amdhsa_private_segment_fixed_size 0
		.amdhsa_kernarg_size 28
		.amdhsa_user_sgpr_count 2
		.amdhsa_user_sgpr_dispatch_ptr 0
		.amdhsa_user_sgpr_queue_ptr 0
		.amdhsa_user_sgpr_kernarg_segment_ptr 1
		.amdhsa_user_sgpr_dispatch_id 0
		.amdhsa_user_sgpr_kernarg_preload_length 0
		.amdhsa_user_sgpr_kernarg_preload_offset 0
		.amdhsa_user_sgpr_private_segment_size 0
		.amdhsa_uses_dynamic_stack 0
		.amdhsa_enable_private_segment 0
		.amdhsa_system_sgpr_workgroup_id_x 1
		.amdhsa_system_sgpr_workgroup_id_y 0
		.amdhsa_system_sgpr_workgroup_id_z 0
		.amdhsa_system_sgpr_workgroup_info 0
		.amdhsa_system_vgpr_workitem_id 0
		.amdhsa_next_free_vgpr 35
		.amdhsa_next_free_sgpr 28
		.amdhsa_accum_offset 36
		.amdhsa_reserve_vcc 1
		.amdhsa_float_round_mode_32 0
		.amdhsa_float_round_mode_16_64 0
		.amdhsa_float_denorm_mode_32 3
		.amdhsa_float_denorm_mode_16_64 3
		.amdhsa_dx10_clamp 1
		.amdhsa_ieee_mode 1
		.amdhsa_fp16_overflow 0
		.amdhsa_tg_split 0
		.amdhsa_exception_fp_ieee_invalid_op 0
		.amdhsa_exception_fp_denorm_src 0
		.amdhsa_exception_fp_ieee_div_zero 0
		.amdhsa_exception_fp_ieee_overflow 0
		.amdhsa_exception_fp_ieee_underflow 0
		.amdhsa_exception_fp_ieee_inexact 0
		.amdhsa_exception_int_div_zero 0
	.end_amdhsa_kernel
	.section	.text._Z10pnpoly_optILi8EEvPiPK15HIP_vector_typeIfLj2EES4_i,"axG",@progbits,_Z10pnpoly_optILi8EEvPiPK15HIP_vector_typeIfLj2EES4_i,comdat
.Lfunc_end4:
	.size	_Z10pnpoly_optILi8EEvPiPK15HIP_vector_typeIfLj2EES4_i, .Lfunc_end4-_Z10pnpoly_optILi8EEvPiPK15HIP_vector_typeIfLj2EES4_i
                                        ; -- End function
	.set _Z10pnpoly_optILi8EEvPiPK15HIP_vector_typeIfLj2EES4_i.num_vgpr, 35
	.set _Z10pnpoly_optILi8EEvPiPK15HIP_vector_typeIfLj2EES4_i.num_agpr, 0
	.set _Z10pnpoly_optILi8EEvPiPK15HIP_vector_typeIfLj2EES4_i.numbered_sgpr, 28
	.set _Z10pnpoly_optILi8EEvPiPK15HIP_vector_typeIfLj2EES4_i.num_named_barrier, 0
	.set _Z10pnpoly_optILi8EEvPiPK15HIP_vector_typeIfLj2EES4_i.private_seg_size, 0
	.set _Z10pnpoly_optILi8EEvPiPK15HIP_vector_typeIfLj2EES4_i.uses_vcc, 1
	.set _Z10pnpoly_optILi8EEvPiPK15HIP_vector_typeIfLj2EES4_i.uses_flat_scratch, 0
	.set _Z10pnpoly_optILi8EEvPiPK15HIP_vector_typeIfLj2EES4_i.has_dyn_sized_stack, 0
	.set _Z10pnpoly_optILi8EEvPiPK15HIP_vector_typeIfLj2EES4_i.has_recursion, 0
	.set _Z10pnpoly_optILi8EEvPiPK15HIP_vector_typeIfLj2EES4_i.has_indirect_call, 0
	.section	.AMDGPU.csdata,"",@progbits
; Kernel info:
; codeLenInByte = 1416
; TotalNumSgprs: 34
; NumVgprs: 35
; NumAgprs: 0
; TotalNumVgprs: 35
; ScratchSize: 0
; MemoryBound: 0
; FloatMode: 240
; IeeeMode: 1
; LDSByteSize: 0 bytes/workgroup (compile time only)
; SGPRBlocks: 4
; VGPRBlocks: 4
; NumSGPRsForWavesPerEU: 34
; NumVGPRsForWavesPerEU: 35
; AccumOffset: 36
; Occupancy: 8
; WaveLimiterHint : 0
; COMPUTE_PGM_RSRC2:SCRATCH_EN: 0
; COMPUTE_PGM_RSRC2:USER_SGPR: 2
; COMPUTE_PGM_RSRC2:TRAP_HANDLER: 0
; COMPUTE_PGM_RSRC2:TGID_X_EN: 1
; COMPUTE_PGM_RSRC2:TGID_Y_EN: 0
; COMPUTE_PGM_RSRC2:TGID_Z_EN: 0
; COMPUTE_PGM_RSRC2:TIDIG_COMP_CNT: 0
; COMPUTE_PGM_RSRC3_GFX90A:ACCUM_OFFSET: 8
; COMPUTE_PGM_RSRC3_GFX90A:TG_SPLIT: 0
	.section	.text._Z10pnpoly_optILi16EEvPiPK15HIP_vector_typeIfLj2EES4_i,"axG",@progbits,_Z10pnpoly_optILi16EEvPiPK15HIP_vector_typeIfLj2EES4_i,comdat
	.protected	_Z10pnpoly_optILi16EEvPiPK15HIP_vector_typeIfLj2EES4_i ; -- Begin function _Z10pnpoly_optILi16EEvPiPK15HIP_vector_typeIfLj2EES4_i
	.globl	_Z10pnpoly_optILi16EEvPiPK15HIP_vector_typeIfLj2EES4_i
	.p2align	8
	.type	_Z10pnpoly_optILi16EEvPiPK15HIP_vector_typeIfLj2EES4_i,@function
_Z10pnpoly_optILi16EEvPiPK15HIP_vector_typeIfLj2EES4_i: ; @_Z10pnpoly_optILi16EEvPiPK15HIP_vector_typeIfLj2EES4_i
; %bb.0:
	s_load_dword s33, s[0:1], 0x18
	v_lshl_or_b32 v16, s2, 12, v0
	s_waitcnt lgkmcnt(0)
	v_cmp_gt_i32_e32 vcc, s33, v16
	s_and_saveexec_b64 s[2:3], vcc
	s_cbranch_execz .LBB5_53
; %bb.1:
	s_load_dwordx2 s[24:25], s[0:1], 0x8
	v_ashrrev_i32_e32 v17, 31, v16
	v_add_u32_e32 v2, 0x100, v16
	v_cmp_gt_i32_e64 s[30:31], s33, v2
                                        ; implicit-def: $vgpr20
	s_waitcnt lgkmcnt(0)
	v_lshl_add_u64 v[0:1], v[16:17], 3, s[24:25]
	global_load_dwordx2 v[18:19], v[0:1], off
	s_and_saveexec_b64 s[2:3], s[30:31]
	s_cbranch_execz .LBB5_3
; %bb.2:
	global_load_dwordx2 v[20:21], v[0:1], off offset:2048
.LBB5_3:
	s_or_b64 exec, exec, s[2:3]
	v_add_u32_e32 v2, 0x200, v16
	v_cmp_gt_i32_e64 s[2:3], s33, v2
                                        ; implicit-def: $vgpr22
	s_and_saveexec_b64 s[4:5], s[2:3]
	s_cbranch_execz .LBB5_5
; %bb.4:
	v_add_co_u32_e32 v2, vcc, 0x1000, v0
	s_nop 1
	v_addc_co_u32_e32 v3, vcc, 0, v1, vcc
	global_load_dwordx2 v[22:23], v[2:3], off
.LBB5_5:
	s_or_b64 exec, exec, s[4:5]
	v_add_u32_e32 v2, 0x300, v16
	v_cmp_gt_i32_e64 s[4:5], s33, v2
                                        ; implicit-def: $vgpr26
	s_and_saveexec_b64 s[6:7], s[4:5]
	s_cbranch_execz .LBB5_7
; %bb.6:
	v_add_co_u32_e32 v2, vcc, 0x1000, v0
	s_nop 1
	v_addc_co_u32_e32 v3, vcc, 0, v1, vcc
	global_load_dwordx2 v[26:27], v[2:3], off offset:2048
.LBB5_7:
	s_or_b64 exec, exec, s[6:7]
	v_or_b32_e32 v24, 0x400, v16
	v_cmp_gt_i32_e64 s[6:7], s33, v24
	v_ashrrev_i32_e32 v25, 31, v24
                                        ; implicit-def: $vgpr30
	s_and_saveexec_b64 s[8:9], s[6:7]
	s_cbranch_execz .LBB5_9
; %bb.8:
	v_lshl_add_u64 v[2:3], v[24:25], 3, s[24:25]
	global_load_dwordx2 v[30:31], v[2:3], off
.LBB5_9:
	s_or_b64 exec, exec, s[8:9]
	v_add_u32_e32 v2, 0x500, v16
	v_cmp_gt_i32_e64 s[8:9], s33, v2
                                        ; implicit-def: $vgpr32
	s_and_saveexec_b64 s[10:11], s[8:9]
	s_cbranch_execz .LBB5_11
; %bb.10:
	v_add_co_u32_e32 v2, vcc, 0x2000, v0
	s_nop 1
	v_addc_co_u32_e32 v3, vcc, 0, v1, vcc
	global_load_dwordx2 v[32:33], v[2:3], off offset:2048
.LBB5_11:
	s_or_b64 exec, exec, s[10:11]
	v_add_u32_e32 v2, 0x600, v16
	v_cmp_gt_i32_e64 s[10:11], s33, v2
                                        ; implicit-def: $vgpr36
	s_and_saveexec_b64 s[12:13], s[10:11]
	s_cbranch_execz .LBB5_13
; %bb.12:
	v_add_co_u32_e32 v2, vcc, 0x3000, v0
	s_nop 1
	v_addc_co_u32_e32 v3, vcc, 0, v1, vcc
	global_load_dwordx2 v[36:37], v[2:3], off
.LBB5_13:
	s_or_b64 exec, exec, s[12:13]
	v_add_u32_e32 v2, 0x700, v16
	v_cmp_gt_i32_e64 s[12:13], s33, v2
                                        ; implicit-def: $vgpr38
	s_and_saveexec_b64 s[14:15], s[12:13]
	s_cbranch_execz .LBB5_15
; %bb.14:
	v_add_co_u32_e32 v2, vcc, 0x3000, v0
	s_nop 1
	v_addc_co_u32_e32 v3, vcc, 0, v1, vcc
	global_load_dwordx2 v[38:39], v[2:3], off offset:2048
.LBB5_15:
	s_or_b64 exec, exec, s[14:15]
	v_or_b32_e32 v28, 0x800, v16
	v_cmp_gt_i32_e64 s[14:15], s33, v28
	v_ashrrev_i32_e32 v29, 31, v28
                                        ; implicit-def: $vgpr40
	s_and_saveexec_b64 s[16:17], s[14:15]
	s_cbranch_execz .LBB5_17
; %bb.16:
	v_lshl_add_u64 v[2:3], v[28:29], 3, s[24:25]
	global_load_dwordx2 v[40:41], v[2:3], off
.LBB5_17:
	s_or_b64 exec, exec, s[16:17]
	v_add_u32_e32 v2, 0x900, v16
	v_cmp_gt_i32_e64 s[16:17], s33, v2
                                        ; implicit-def: $vgpr42
	s_and_saveexec_b64 s[18:19], s[16:17]
	s_cbranch_execz .LBB5_19
; %bb.18:
	v_add_co_u32_e32 v2, vcc, 0x4000, v0
	s_nop 1
	v_addc_co_u32_e32 v3, vcc, 0, v1, vcc
	global_load_dwordx2 v[42:43], v[2:3], off offset:2048
.LBB5_19:
	s_or_b64 exec, exec, s[18:19]
	v_add_u32_e32 v2, 0xa00, v16
	v_cmp_gt_i32_e64 s[18:19], s33, v2
                                        ; implicit-def: $vgpr44
	s_and_saveexec_b64 s[20:21], s[18:19]
	s_cbranch_execz .LBB5_21
; %bb.20:
	v_add_co_u32_e32 v2, vcc, 0x5000, v0
	s_nop 1
	v_addc_co_u32_e32 v3, vcc, 0, v1, vcc
	global_load_dwordx2 v[44:45], v[2:3], off
.LBB5_21:
	s_or_b64 exec, exec, s[20:21]
	v_add_u32_e32 v2, 0xb00, v16
	v_cmp_gt_i32_e64 s[20:21], s33, v2
                                        ; implicit-def: $vgpr46
	s_and_saveexec_b64 s[22:23], s[20:21]
	s_cbranch_execz .LBB5_23
; %bb.22:
	v_add_co_u32_e32 v2, vcc, 0x5000, v0
	s_nop 1
	v_addc_co_u32_e32 v3, vcc, 0, v1, vcc
	global_load_dwordx2 v[46:47], v[2:3], off offset:2048
.LBB5_23:
	s_or_b64 exec, exec, s[22:23]
	v_or_b32_e32 v34, 0xc00, v16
	v_cmp_gt_i32_e64 s[22:23], s33, v34
	v_ashrrev_i32_e32 v35, 31, v34
                                        ; implicit-def: $vgpr48
	s_and_saveexec_b64 s[26:27], s[22:23]
	s_cbranch_execz .LBB5_25
; %bb.24:
	v_lshl_add_u64 v[2:3], v[34:35], 3, s[24:25]
	global_load_dwordx2 v[48:49], v[2:3], off
.LBB5_25:
	s_or_b64 exec, exec, s[26:27]
	v_add_u32_e32 v2, 0xd00, v16
	v_cmp_gt_i32_e64 s[24:25], s33, v2
                                        ; implicit-def: $vgpr50
	s_and_saveexec_b64 s[26:27], s[24:25]
	s_cbranch_execz .LBB5_27
; %bb.26:
	v_add_co_u32_e32 v2, vcc, 0x6000, v0
	s_nop 1
	v_addc_co_u32_e32 v3, vcc, 0, v1, vcc
	global_load_dwordx2 v[50:51], v[2:3], off offset:2048
.LBB5_27:
	s_or_b64 exec, exec, s[26:27]
	s_load_dwordx2 s[38:39], s[0:1], 0x10
	v_add_u32_e32 v2, 0xe00, v16
	v_cmp_gt_i32_e64 s[26:27], s33, v2
                                        ; implicit-def: $vgpr52
	s_and_saveexec_b64 s[28:29], s[26:27]
	s_cbranch_execz .LBB5_29
; %bb.28:
	v_add_co_u32_e32 v2, vcc, 0x7000, v0
	s_nop 1
	v_addc_co_u32_e32 v3, vcc, 0, v1, vcc
	global_load_dwordx2 v[52:53], v[2:3], off
.LBB5_29:
	s_or_b64 exec, exec, s[28:29]
	s_load_dwordx2 s[36:37], s[0:1], 0x0
	v_add_u32_e32 v2, 0xf00, v16
	v_cmp_gt_i32_e64 s[28:29], s33, v2
                                        ; implicit-def: $vgpr54
	s_and_saveexec_b64 s[0:1], s[28:29]
	s_cbranch_execz .LBB5_31
; %bb.30:
	v_add_co_u32_e32 v0, vcc, 0x7000, v0
	s_nop 1
	v_addc_co_u32_e32 v1, vcc, 0, v1, vcc
	global_load_dwordx2 v[54:55], v[0:1], off offset:2048
.LBB5_31:
	s_or_b64 exec, exec, s[0:1]
	s_waitcnt lgkmcnt(0)
	s_load_dwordx2 s[44:45], s[38:39], 0x12b8
	v_mov_b32_e32 v0, 0
	v_mov_b32_e32 v1, v0
	;; [unrolled: 1-line block ×3, first 2 shown]
	s_mov_b64 s[40:41], 0
	v_mov_b32_e32 v3, v0
	v_mov_b32_e32 v4, v0
	;; [unrolled: 1-line block ×13, first 2 shown]
	s_branch .LBB5_34
.LBB5_32:                               ;   in Loop: Header=BB5_34 Depth=1
	s_or_b64 exec, exec, s[34:35]
.LBB5_33:                               ;   in Loop: Header=BB5_34 Depth=1
	s_or_b64 exec, exec, s[0:1]
	v_subrev_f32_e32 v57, s43, v21
	v_cmp_gt_f32_e64 s[0:1], s43, v21
	v_cmp_ngt_f32_e64 s[34:35], s45, v21
	v_fma_f32 v57, v56, v57, s42
	s_xor_b64 s[0:1], s[0:1], s[34:35]
	v_cmp_lt_f32_e32 vcc, v20, v57
	s_xor_b64 s[34:35], s[0:1], -1
	v_cmp_eq_u32_e64 s[0:1], 0, v1
	s_and_b64 vcc, s[34:35], vcc
	v_cmp_ngt_f32_e64 s[34:35], s45, v23
	v_cndmask_b32_e64 v57, 0, 1, s[0:1]
	v_cndmask_b32_e32 v1, v1, v57, vcc
	v_subrev_f32_e32 v57, s43, v23
	v_cmp_gt_f32_e64 s[0:1], s43, v23
	v_fma_f32 v57, v56, v57, s42
	s_xor_b64 s[0:1], s[0:1], s[34:35]
	v_cmp_lt_f32_e32 vcc, v22, v57
	s_xor_b64 s[34:35], s[0:1], -1
	v_cmp_eq_u32_e64 s[0:1], 0, v2
	s_and_b64 vcc, s[34:35], vcc
	v_cmp_ngt_f32_e64 s[34:35], s45, v27
	v_cndmask_b32_e64 v57, 0, 1, s[0:1]
	v_cndmask_b32_e32 v2, v2, v57, vcc
	v_subrev_f32_e32 v57, s43, v27
	v_cmp_gt_f32_e64 s[0:1], s43, v27
	v_fma_f32 v57, v56, v57, s42
	s_xor_b64 s[0:1], s[0:1], s[34:35]
	v_cmp_lt_f32_e32 vcc, v26, v57
	s_xor_b64 s[34:35], s[0:1], -1
	v_cmp_eq_u32_e64 s[0:1], 0, v3
	s_and_b64 vcc, s[34:35], vcc
	v_cmp_ngt_f32_e64 s[34:35], s45, v31
	v_cndmask_b32_e64 v57, 0, 1, s[0:1]
	v_cndmask_b32_e32 v3, v3, v57, vcc
	v_subrev_f32_e32 v57, s43, v31
	v_cmp_gt_f32_e64 s[0:1], s43, v31
	v_fma_f32 v57, v56, v57, s42
	s_xor_b64 s[0:1], s[0:1], s[34:35]
	v_cmp_lt_f32_e32 vcc, v30, v57
	s_xor_b64 s[34:35], s[0:1], -1
	v_cmp_eq_u32_e64 s[0:1], 0, v4
	s_and_b64 vcc, s[34:35], vcc
	v_cmp_ngt_f32_e64 s[34:35], s45, v33
	v_cndmask_b32_e64 v57, 0, 1, s[0:1]
	v_cndmask_b32_e32 v4, v4, v57, vcc
	v_subrev_f32_e32 v57, s43, v33
	v_cmp_gt_f32_e64 s[0:1], s43, v33
	v_fma_f32 v57, v56, v57, s42
	s_xor_b64 s[0:1], s[0:1], s[34:35]
	v_cmp_lt_f32_e32 vcc, v32, v57
	s_xor_b64 s[34:35], s[0:1], -1
	v_cmp_eq_u32_e64 s[0:1], 0, v5
	s_and_b64 vcc, s[34:35], vcc
	v_cmp_ngt_f32_e64 s[34:35], s45, v37
	v_cndmask_b32_e64 v57, 0, 1, s[0:1]
	v_cndmask_b32_e32 v5, v5, v57, vcc
	v_subrev_f32_e32 v57, s43, v37
	v_cmp_gt_f32_e64 s[0:1], s43, v37
	v_fma_f32 v57, v56, v57, s42
	s_xor_b64 s[0:1], s[0:1], s[34:35]
	v_cmp_lt_f32_e32 vcc, v36, v57
	s_xor_b64 s[34:35], s[0:1], -1
	v_cmp_eq_u32_e64 s[0:1], 0, v6
	s_and_b64 vcc, s[34:35], vcc
	v_cmp_ngt_f32_e64 s[34:35], s45, v39
	v_cndmask_b32_e64 v57, 0, 1, s[0:1]
	v_cndmask_b32_e32 v6, v6, v57, vcc
	v_subrev_f32_e32 v57, s43, v39
	v_cmp_gt_f32_e64 s[0:1], s43, v39
	v_fma_f32 v57, v56, v57, s42
	s_xor_b64 s[0:1], s[0:1], s[34:35]
	v_cmp_lt_f32_e32 vcc, v38, v57
	s_xor_b64 s[34:35], s[0:1], -1
	v_cmp_eq_u32_e64 s[0:1], 0, v7
	s_and_b64 vcc, s[34:35], vcc
	v_cmp_ngt_f32_e64 s[34:35], s45, v41
	v_cndmask_b32_e64 v57, 0, 1, s[0:1]
	v_cndmask_b32_e32 v7, v7, v57, vcc
	v_subrev_f32_e32 v57, s43, v41
	v_cmp_gt_f32_e64 s[0:1], s43, v41
	v_fma_f32 v57, v56, v57, s42
	s_xor_b64 s[0:1], s[0:1], s[34:35]
	v_cmp_lt_f32_e32 vcc, v40, v57
	s_xor_b64 s[34:35], s[0:1], -1
	v_cmp_eq_u32_e64 s[0:1], 0, v8
	s_and_b64 vcc, s[34:35], vcc
	v_cmp_ngt_f32_e64 s[34:35], s45, v43
	v_cndmask_b32_e64 v57, 0, 1, s[0:1]
	v_cndmask_b32_e32 v8, v8, v57, vcc
	v_subrev_f32_e32 v57, s43, v43
	v_cmp_gt_f32_e64 s[0:1], s43, v43
	v_fma_f32 v57, v56, v57, s42
	s_xor_b64 s[0:1], s[0:1], s[34:35]
	v_cmp_lt_f32_e32 vcc, v42, v57
	s_xor_b64 s[34:35], s[0:1], -1
	v_cmp_eq_u32_e64 s[0:1], 0, v9
	s_and_b64 vcc, s[34:35], vcc
	v_cmp_ngt_f32_e64 s[34:35], s45, v45
	v_cndmask_b32_e64 v57, 0, 1, s[0:1]
	v_cndmask_b32_e32 v9, v9, v57, vcc
	v_subrev_f32_e32 v57, s43, v45
	v_cmp_gt_f32_e64 s[0:1], s43, v45
	v_fma_f32 v57, v56, v57, s42
	s_xor_b64 s[0:1], s[0:1], s[34:35]
	v_cmp_lt_f32_e32 vcc, v44, v57
	s_xor_b64 s[34:35], s[0:1], -1
	v_cmp_eq_u32_e64 s[0:1], 0, v10
	s_and_b64 vcc, s[34:35], vcc
	v_cmp_ngt_f32_e64 s[34:35], s45, v47
	v_cndmask_b32_e64 v57, 0, 1, s[0:1]
	v_cndmask_b32_e32 v10, v10, v57, vcc
	v_subrev_f32_e32 v57, s43, v47
	v_cmp_gt_f32_e64 s[0:1], s43, v47
	v_fma_f32 v57, v56, v57, s42
	s_xor_b64 s[0:1], s[0:1], s[34:35]
	v_cmp_lt_f32_e32 vcc, v46, v57
	s_xor_b64 s[34:35], s[0:1], -1
	v_cmp_eq_u32_e64 s[0:1], 0, v11
	s_and_b64 vcc, s[34:35], vcc
	v_cmp_ngt_f32_e64 s[34:35], s45, v49
	v_cndmask_b32_e64 v57, 0, 1, s[0:1]
	v_cndmask_b32_e32 v11, v11, v57, vcc
	v_subrev_f32_e32 v57, s43, v49
	v_cmp_gt_f32_e64 s[0:1], s43, v49
	v_fma_f32 v57, v56, v57, s42
	s_xor_b64 s[0:1], s[0:1], s[34:35]
	v_cmp_lt_f32_e32 vcc, v48, v57
	s_xor_b64 s[34:35], s[0:1], -1
	v_cmp_eq_u32_e64 s[0:1], 0, v12
	s_and_b64 vcc, s[34:35], vcc
	v_cmp_ngt_f32_e64 s[34:35], s45, v51
	v_cndmask_b32_e64 v57, 0, 1, s[0:1]
	v_cndmask_b32_e32 v12, v12, v57, vcc
	v_subrev_f32_e32 v57, s43, v51
	v_cmp_gt_f32_e64 s[0:1], s43, v51
	v_fma_f32 v57, v56, v57, s42
	s_xor_b64 s[0:1], s[0:1], s[34:35]
	v_cmp_lt_f32_e32 vcc, v50, v57
	s_xor_b64 s[34:35], s[0:1], -1
	v_cmp_eq_u32_e64 s[0:1], 0, v13
	s_and_b64 vcc, s[34:35], vcc
	v_cmp_ngt_f32_e64 s[34:35], s45, v53
	v_cndmask_b32_e64 v57, 0, 1, s[0:1]
	v_cndmask_b32_e32 v13, v13, v57, vcc
	v_subrev_f32_e32 v57, s43, v53
	v_cmp_gt_f32_e64 s[0:1], s43, v53
	v_fma_f32 v57, v56, v57, s42
	s_xor_b64 s[0:1], s[0:1], s[34:35]
	v_cmp_lt_f32_e32 vcc, v52, v57
	s_xor_b64 s[34:35], s[0:1], -1
	v_cmp_eq_u32_e64 s[0:1], 0, v14
	s_and_b64 vcc, s[34:35], vcc
	v_cmp_ngt_f32_e64 s[34:35], s45, v55
	v_cndmask_b32_e64 v57, 0, 1, s[0:1]
	v_cndmask_b32_e32 v14, v14, v57, vcc
	v_subrev_f32_e32 v57, s43, v55
	v_cmp_gt_f32_e64 s[0:1], s43, v55
	v_fma_f32 v56, v56, v57, s42
	s_xor_b64 s[0:1], s[0:1], s[34:35]
	v_cmp_lt_f32_e32 vcc, v54, v56
	s_xor_b64 s[34:35], s[0:1], -1
	s_and_b64 vcc, s[34:35], vcc
	v_cmp_eq_u32_e64 s[0:1], 0, v15
	s_add_u32 s40, s40, 8
	s_addc_u32 s41, s41, 0
	v_cndmask_b32_e64 v56, 0, 1, s[0:1]
	v_cndmask_b32_e32 v15, v15, v56, vcc
	s_cmpk_lg_i32 s40, 0x12c0
	s_mov_b64 s[44:45], s[42:43]
	s_cbranch_scc0 .LBB5_37
.LBB5_34:                               ; =>This Inner Loop Header: Depth=1
	s_add_u32 s0, s38, s40
	s_addc_u32 s1, s39, s41
	s_load_dwordx2 s[42:43], s[0:1], 0x0
	s_waitcnt vmcnt(0) lgkmcnt(0)
	v_cmp_ngt_f32_e32 vcc, s45, v19
	v_mov_b64_e32 v[56:57], s[42:43]
	v_pk_add_f32 v[56:57], s[44:45], v[56:57] neg_lo:[0,1] neg_hi:[0,1]
	v_cmp_gt_f32_e64 s[0:1], s43, v19
	v_div_scale_f32 v58, s[34:35], v57, v57, v56
	v_rcp_f32_e32 v59, v58
	s_xor_b64 s[0:1], s[0:1], vcc
	v_div_scale_f32 v60, vcc, v56, v57, v56
	v_fma_f32 v61, -v58, v59, 1.0
	v_fmac_f32_e32 v59, v61, v59
	v_mul_f32_e32 v61, v60, v59
	v_fma_f32 v62, -v58, v61, v60
	v_fmac_f32_e32 v61, v62, v59
	v_fma_f32 v58, -v58, v61, v60
	v_div_fmas_f32 v58, v58, v59, v61
	v_div_fixup_f32 v56, v58, v57, v56
	s_xor_b64 s[34:35], s[0:1], -1
	s_and_saveexec_b64 s[0:1], s[34:35]
	s_cbranch_execz .LBB5_33
; %bb.35:                               ;   in Loop: Header=BB5_34 Depth=1
	v_subrev_f32_e32 v57, s43, v19
	v_fma_f32 v57, v56, v57, s42
	v_cmp_lt_f32_e32 vcc, v18, v57
	s_and_saveexec_b64 s[34:35], vcc
	s_cbranch_execz .LBB5_32
; %bb.36:                               ;   in Loop: Header=BB5_34 Depth=1
	v_cmp_eq_u32_e32 vcc, 0, v0
	s_nop 1
	v_cndmask_b32_e64 v0, 0, 1, vcc
	s_branch .LBB5_32
.LBB5_37:
	v_lshl_add_u64 v[16:17], v[16:17], 2, s[36:37]
	global_store_dword v[16:17], v0, off
	s_and_saveexec_b64 s[0:1], s[30:31]
	s_cbranch_execnz .LBB5_54
; %bb.38:
	s_or_b64 exec, exec, s[0:1]
	s_and_saveexec_b64 s[0:1], s[2:3]
	s_cbranch_execnz .LBB5_55
.LBB5_39:
	s_or_b64 exec, exec, s[0:1]
	s_and_saveexec_b64 s[0:1], s[4:5]
	s_cbranch_execnz .LBB5_56
.LBB5_40:
	s_or_b64 exec, exec, s[0:1]
	s_and_saveexec_b64 s[0:1], s[6:7]
	s_cbranch_execnz .LBB5_57
.LBB5_41:
	s_or_b64 exec, exec, s[0:1]
	s_and_saveexec_b64 s[0:1], s[8:9]
	s_cbranch_execnz .LBB5_58
.LBB5_42:
	s_or_b64 exec, exec, s[0:1]
	s_and_saveexec_b64 s[0:1], s[10:11]
	s_cbranch_execnz .LBB5_59
.LBB5_43:
	s_or_b64 exec, exec, s[0:1]
	s_and_saveexec_b64 s[0:1], s[12:13]
	s_cbranch_execnz .LBB5_60
.LBB5_44:
	s_or_b64 exec, exec, s[0:1]
	s_and_saveexec_b64 s[0:1], s[14:15]
	s_cbranch_execnz .LBB5_61
.LBB5_45:
	s_or_b64 exec, exec, s[0:1]
	s_and_saveexec_b64 s[0:1], s[16:17]
	s_cbranch_execnz .LBB5_62
.LBB5_46:
	s_or_b64 exec, exec, s[0:1]
	s_and_saveexec_b64 s[0:1], s[18:19]
	s_cbranch_execnz .LBB5_63
.LBB5_47:
	s_or_b64 exec, exec, s[0:1]
	s_and_saveexec_b64 s[0:1], s[20:21]
	s_cbranch_execnz .LBB5_64
.LBB5_48:
	s_or_b64 exec, exec, s[0:1]
	s_and_saveexec_b64 s[0:1], s[22:23]
	s_cbranch_execnz .LBB5_65
.LBB5_49:
	s_or_b64 exec, exec, s[0:1]
	s_and_saveexec_b64 s[0:1], s[24:25]
	s_cbranch_execnz .LBB5_66
.LBB5_50:
	s_or_b64 exec, exec, s[0:1]
	s_and_saveexec_b64 s[0:1], s[26:27]
	s_cbranch_execnz .LBB5_67
.LBB5_51:
	s_or_b64 exec, exec, s[0:1]
	s_and_b64 exec, exec, s[28:29]
	s_cbranch_execz .LBB5_53
.LBB5_52:
	v_add_co_u32_e32 v0, vcc, 0x3000, v16
	s_nop 1
	v_addc_co_u32_e32 v1, vcc, 0, v17, vcc
	global_store_dword v[0:1], v15, off offset:3072
.LBB5_53:
	s_endpgm
.LBB5_54:
	global_store_dword v[16:17], v1, off offset:1024
	s_or_b64 exec, exec, s[0:1]
	s_and_saveexec_b64 s[0:1], s[2:3]
	s_cbranch_execz .LBB5_39
.LBB5_55:
	global_store_dword v[16:17], v2, off offset:2048
	s_or_b64 exec, exec, s[0:1]
	s_and_saveexec_b64 s[0:1], s[4:5]
	s_cbranch_execz .LBB5_40
.LBB5_56:
	global_store_dword v[16:17], v3, off offset:3072
	s_or_b64 exec, exec, s[0:1]
	s_and_saveexec_b64 s[0:1], s[6:7]
	s_cbranch_execz .LBB5_41
.LBB5_57:
	v_lshl_add_u64 v[0:1], v[24:25], 2, s[36:37]
	global_store_dword v[0:1], v4, off
	s_or_b64 exec, exec, s[0:1]
	s_and_saveexec_b64 s[0:1], s[8:9]
	s_cbranch_execz .LBB5_42
.LBB5_58:
	v_add_co_u32_e32 v0, vcc, 0x1000, v16
	s_nop 1
	v_addc_co_u32_e32 v1, vcc, 0, v17, vcc
	global_store_dword v[0:1], v5, off offset:1024
	s_or_b64 exec, exec, s[0:1]
	s_and_saveexec_b64 s[0:1], s[10:11]
	s_cbranch_execz .LBB5_43
.LBB5_59:
	v_add_co_u32_e32 v0, vcc, 0x1000, v16
	s_nop 1
	v_addc_co_u32_e32 v1, vcc, 0, v17, vcc
	global_store_dword v[0:1], v6, off offset:2048
	s_or_b64 exec, exec, s[0:1]
	s_and_saveexec_b64 s[0:1], s[12:13]
	s_cbranch_execz .LBB5_44
.LBB5_60:
	v_add_co_u32_e32 v0, vcc, 0x1000, v16
	s_nop 1
	v_addc_co_u32_e32 v1, vcc, 0, v17, vcc
	global_store_dword v[0:1], v7, off offset:3072
	s_or_b64 exec, exec, s[0:1]
	s_and_saveexec_b64 s[0:1], s[14:15]
	s_cbranch_execz .LBB5_45
.LBB5_61:
	v_lshl_add_u64 v[0:1], v[28:29], 2, s[36:37]
	global_store_dword v[0:1], v8, off
	s_or_b64 exec, exec, s[0:1]
	s_and_saveexec_b64 s[0:1], s[16:17]
	s_cbranch_execz .LBB5_46
.LBB5_62:
	v_add_co_u32_e32 v0, vcc, 0x2000, v16
	s_nop 1
	v_addc_co_u32_e32 v1, vcc, 0, v17, vcc
	global_store_dword v[0:1], v9, off offset:1024
	s_or_b64 exec, exec, s[0:1]
	s_and_saveexec_b64 s[0:1], s[18:19]
	s_cbranch_execz .LBB5_47
.LBB5_63:
	v_add_co_u32_e32 v0, vcc, 0x2000, v16
	s_nop 1
	v_addc_co_u32_e32 v1, vcc, 0, v17, vcc
	global_store_dword v[0:1], v10, off offset:2048
	s_or_b64 exec, exec, s[0:1]
	s_and_saveexec_b64 s[0:1], s[20:21]
	s_cbranch_execz .LBB5_48
.LBB5_64:
	v_add_co_u32_e32 v0, vcc, 0x2000, v16
	s_nop 1
	v_addc_co_u32_e32 v1, vcc, 0, v17, vcc
	global_store_dword v[0:1], v11, off offset:3072
	s_or_b64 exec, exec, s[0:1]
	s_and_saveexec_b64 s[0:1], s[22:23]
	s_cbranch_execz .LBB5_49
.LBB5_65:
	v_lshl_add_u64 v[0:1], v[34:35], 2, s[36:37]
	global_store_dword v[0:1], v12, off
	s_or_b64 exec, exec, s[0:1]
	s_and_saveexec_b64 s[0:1], s[24:25]
	s_cbranch_execz .LBB5_50
.LBB5_66:
	v_add_co_u32_e32 v0, vcc, 0x3000, v16
	s_nop 1
	v_addc_co_u32_e32 v1, vcc, 0, v17, vcc
	global_store_dword v[0:1], v13, off offset:1024
	s_or_b64 exec, exec, s[0:1]
	s_and_saveexec_b64 s[0:1], s[26:27]
	s_cbranch_execz .LBB5_51
.LBB5_67:
	v_add_co_u32_e32 v0, vcc, 0x3000, v16
	s_nop 1
	v_addc_co_u32_e32 v1, vcc, 0, v17, vcc
	global_store_dword v[0:1], v14, off offset:2048
	s_or_b64 exec, exec, s[0:1]
	s_and_b64 exec, exec, s[28:29]
	s_cbranch_execnz .LBB5_52
	s_branch .LBB5_53
	.section	.rodata,"a",@progbits
	.p2align	6, 0x0
	.amdhsa_kernel _Z10pnpoly_optILi16EEvPiPK15HIP_vector_typeIfLj2EES4_i
		.amdhsa_group_segment_fixed_size 0
		.amdhsa_private_segment_fixed_size 0
		.amdhsa_kernarg_size 28
		.amdhsa_user_sgpr_count 2
		.amdhsa_user_sgpr_dispatch_ptr 0
		.amdhsa_user_sgpr_queue_ptr 0
		.amdhsa_user_sgpr_kernarg_segment_ptr 1
		.amdhsa_user_sgpr_dispatch_id 0
		.amdhsa_user_sgpr_kernarg_preload_length 0
		.amdhsa_user_sgpr_kernarg_preload_offset 0
		.amdhsa_user_sgpr_private_segment_size 0
		.amdhsa_uses_dynamic_stack 0
		.amdhsa_enable_private_segment 0
		.amdhsa_system_sgpr_workgroup_id_x 1
		.amdhsa_system_sgpr_workgroup_id_y 0
		.amdhsa_system_sgpr_workgroup_id_z 0
		.amdhsa_system_sgpr_workgroup_info 0
		.amdhsa_system_vgpr_workitem_id 0
		.amdhsa_next_free_vgpr 63
		.amdhsa_next_free_sgpr 46
		.amdhsa_accum_offset 64
		.amdhsa_reserve_vcc 1
		.amdhsa_float_round_mode_32 0
		.amdhsa_float_round_mode_16_64 0
		.amdhsa_float_denorm_mode_32 3
		.amdhsa_float_denorm_mode_16_64 3
		.amdhsa_dx10_clamp 1
		.amdhsa_ieee_mode 1
		.amdhsa_fp16_overflow 0
		.amdhsa_tg_split 0
		.amdhsa_exception_fp_ieee_invalid_op 0
		.amdhsa_exception_fp_denorm_src 0
		.amdhsa_exception_fp_ieee_div_zero 0
		.amdhsa_exception_fp_ieee_overflow 0
		.amdhsa_exception_fp_ieee_underflow 0
		.amdhsa_exception_fp_ieee_inexact 0
		.amdhsa_exception_int_div_zero 0
	.end_amdhsa_kernel
	.section	.text._Z10pnpoly_optILi16EEvPiPK15HIP_vector_typeIfLj2EES4_i,"axG",@progbits,_Z10pnpoly_optILi16EEvPiPK15HIP_vector_typeIfLj2EES4_i,comdat
.Lfunc_end5:
	.size	_Z10pnpoly_optILi16EEvPiPK15HIP_vector_typeIfLj2EES4_i, .Lfunc_end5-_Z10pnpoly_optILi16EEvPiPK15HIP_vector_typeIfLj2EES4_i
                                        ; -- End function
	.set _Z10pnpoly_optILi16EEvPiPK15HIP_vector_typeIfLj2EES4_i.num_vgpr, 63
	.set _Z10pnpoly_optILi16EEvPiPK15HIP_vector_typeIfLj2EES4_i.num_agpr, 0
	.set _Z10pnpoly_optILi16EEvPiPK15HIP_vector_typeIfLj2EES4_i.numbered_sgpr, 46
	.set _Z10pnpoly_optILi16EEvPiPK15HIP_vector_typeIfLj2EES4_i.num_named_barrier, 0
	.set _Z10pnpoly_optILi16EEvPiPK15HIP_vector_typeIfLj2EES4_i.private_seg_size, 0
	.set _Z10pnpoly_optILi16EEvPiPK15HIP_vector_typeIfLj2EES4_i.uses_vcc, 1
	.set _Z10pnpoly_optILi16EEvPiPK15HIP_vector_typeIfLj2EES4_i.uses_flat_scratch, 0
	.set _Z10pnpoly_optILi16EEvPiPK15HIP_vector_typeIfLj2EES4_i.has_dyn_sized_stack, 0
	.set _Z10pnpoly_optILi16EEvPiPK15HIP_vector_typeIfLj2EES4_i.has_recursion, 0
	.set _Z10pnpoly_optILi16EEvPiPK15HIP_vector_typeIfLj2EES4_i.has_indirect_call, 0
	.section	.AMDGPU.csdata,"",@progbits
; Kernel info:
; codeLenInByte = 2736
; TotalNumSgprs: 52
; NumVgprs: 63
; NumAgprs: 0
; TotalNumVgprs: 63
; ScratchSize: 0
; MemoryBound: 0
; FloatMode: 240
; IeeeMode: 1
; LDSByteSize: 0 bytes/workgroup (compile time only)
; SGPRBlocks: 6
; VGPRBlocks: 7
; NumSGPRsForWavesPerEU: 52
; NumVGPRsForWavesPerEU: 63
; AccumOffset: 64
; Occupancy: 8
; WaveLimiterHint : 0
; COMPUTE_PGM_RSRC2:SCRATCH_EN: 0
; COMPUTE_PGM_RSRC2:USER_SGPR: 2
; COMPUTE_PGM_RSRC2:TRAP_HANDLER: 0
; COMPUTE_PGM_RSRC2:TGID_X_EN: 1
; COMPUTE_PGM_RSRC2:TGID_Y_EN: 0
; COMPUTE_PGM_RSRC2:TGID_Z_EN: 0
; COMPUTE_PGM_RSRC2:TIDIG_COMP_CNT: 0
; COMPUTE_PGM_RSRC3_GFX90A:ACCUM_OFFSET: 15
; COMPUTE_PGM_RSRC3_GFX90A:TG_SPLIT: 0
	.section	.text._Z10pnpoly_optILi32EEvPiPK15HIP_vector_typeIfLj2EES4_i,"axG",@progbits,_Z10pnpoly_optILi32EEvPiPK15HIP_vector_typeIfLj2EES4_i,comdat
	.protected	_Z10pnpoly_optILi32EEvPiPK15HIP_vector_typeIfLj2EES4_i ; -- Begin function _Z10pnpoly_optILi32EEvPiPK15HIP_vector_typeIfLj2EES4_i
	.globl	_Z10pnpoly_optILi32EEvPiPK15HIP_vector_typeIfLj2EES4_i
	.p2align	8
	.type	_Z10pnpoly_optILi32EEvPiPK15HIP_vector_typeIfLj2EES4_i,@function
_Z10pnpoly_optILi32EEvPiPK15HIP_vector_typeIfLj2EES4_i: ; @_Z10pnpoly_optILi32EEvPiPK15HIP_vector_typeIfLj2EES4_i
; %bb.0:
	s_load_dword s33, s[0:1], 0x18
	v_lshl_or_b32 v32, s2, 13, v0
	s_waitcnt lgkmcnt(0)
	v_cmp_gt_i32_e32 vcc, s33, v32
	s_and_saveexec_b64 s[2:3], vcc
	s_cbranch_execz .LBB6_101
; %bb.1:
	s_load_dwordx2 s[58:59], s[0:1], 0x8
	v_ashrrev_i32_e32 v33, 31, v32
	v_add_u32_e32 v2, 0x100, v32
	v_cmp_gt_i32_e64 s[64:65], s33, v2
                                        ; implicit-def: $vgpr36
	s_waitcnt lgkmcnt(0)
	v_lshl_add_u64 v[0:1], v[32:33], 3, s[58:59]
	global_load_dwordx2 v[34:35], v[0:1], off
	s_and_saveexec_b64 s[2:3], s[64:65]
	s_cbranch_execz .LBB6_3
; %bb.2:
	global_load_dwordx2 v[36:37], v[0:1], off offset:2048
.LBB6_3:
	s_or_b64 exec, exec, s[2:3]
	v_add_u32_e32 v2, 0x200, v32
	v_cmp_gt_i32_e64 s[2:3], s33, v2
                                        ; implicit-def: $vgpr38
	s_and_saveexec_b64 s[4:5], s[2:3]
	s_cbranch_execz .LBB6_5
; %bb.4:
	v_add_co_u32_e32 v2, vcc, 0x1000, v0
	s_nop 1
	v_addc_co_u32_e32 v3, vcc, 0, v1, vcc
	global_load_dwordx2 v[38:39], v[2:3], off
.LBB6_5:
	s_or_b64 exec, exec, s[4:5]
	v_add_u32_e32 v2, 0x300, v32
	v_cmp_gt_i32_e64 s[4:5], s33, v2
                                        ; implicit-def: $vgpr42
	s_and_saveexec_b64 s[6:7], s[4:5]
	s_cbranch_execz .LBB6_7
; %bb.6:
	v_add_co_u32_e32 v2, vcc, 0x1000, v0
	s_nop 1
	v_addc_co_u32_e32 v3, vcc, 0, v1, vcc
	global_load_dwordx2 v[42:43], v[2:3], off offset:2048
.LBB6_7:
	s_or_b64 exec, exec, s[6:7]
	v_or_b32_e32 v40, 0x400, v32
	v_cmp_gt_i32_e64 s[6:7], s33, v40
	v_ashrrev_i32_e32 v41, 31, v40
                                        ; implicit-def: $vgpr46
	s_and_saveexec_b64 s[8:9], s[6:7]
	s_cbranch_execz .LBB6_9
; %bb.8:
	v_lshl_add_u64 v[2:3], v[40:41], 3, s[58:59]
	global_load_dwordx2 v[46:47], v[2:3], off
.LBB6_9:
	s_or_b64 exec, exec, s[8:9]
	v_add_u32_e32 v2, 0x500, v32
	v_cmp_gt_i32_e64 s[8:9], s33, v2
                                        ; implicit-def: $vgpr48
	s_and_saveexec_b64 s[10:11], s[8:9]
	s_cbranch_execz .LBB6_11
; %bb.10:
	v_add_co_u32_e32 v2, vcc, 0x2000, v0
	s_nop 1
	v_addc_co_u32_e32 v3, vcc, 0, v1, vcc
	global_load_dwordx2 v[48:49], v[2:3], off offset:2048
.LBB6_11:
	s_or_b64 exec, exec, s[10:11]
	v_add_u32_e32 v2, 0x600, v32
	v_cmp_gt_i32_e64 s[10:11], s33, v2
                                        ; implicit-def: $vgpr52
	s_and_saveexec_b64 s[12:13], s[10:11]
	s_cbranch_execz .LBB6_13
; %bb.12:
	v_add_co_u32_e32 v2, vcc, 0x3000, v0
	s_nop 1
	v_addc_co_u32_e32 v3, vcc, 0, v1, vcc
	global_load_dwordx2 v[52:53], v[2:3], off
.LBB6_13:
	s_or_b64 exec, exec, s[12:13]
	v_add_u32_e32 v2, 0x700, v32
	v_cmp_gt_i32_e64 s[12:13], s33, v2
                                        ; implicit-def: $vgpr54
	s_and_saveexec_b64 s[14:15], s[12:13]
	s_cbranch_execz .LBB6_15
; %bb.14:
	v_add_co_u32_e32 v2, vcc, 0x3000, v0
	s_nop 1
	v_addc_co_u32_e32 v3, vcc, 0, v1, vcc
	global_load_dwordx2 v[54:55], v[2:3], off offset:2048
.LBB6_15:
	s_or_b64 exec, exec, s[14:15]
	v_or_b32_e32 v44, 0x800, v32
	v_cmp_gt_i32_e64 s[14:15], s33, v44
	v_ashrrev_i32_e32 v45, 31, v44
                                        ; implicit-def: $vgpr58
	s_and_saveexec_b64 s[16:17], s[14:15]
	s_cbranch_execz .LBB6_17
; %bb.16:
	v_lshl_add_u64 v[2:3], v[44:45], 3, s[58:59]
	global_load_dwordx2 v[58:59], v[2:3], off
.LBB6_17:
	s_or_b64 exec, exec, s[16:17]
	v_add_u32_e32 v2, 0x900, v32
	v_cmp_gt_i32_e64 s[16:17], s33, v2
                                        ; implicit-def: $vgpr62
	s_and_saveexec_b64 s[18:19], s[16:17]
	s_cbranch_execz .LBB6_19
; %bb.18:
	v_add_co_u32_e32 v2, vcc, 0x4000, v0
	s_nop 1
	v_addc_co_u32_e32 v3, vcc, 0, v1, vcc
	global_load_dwordx2 v[62:63], v[2:3], off offset:2048
.LBB6_19:
	s_or_b64 exec, exec, s[18:19]
	v_add_u32_e32 v2, 0xa00, v32
	v_cmp_gt_i32_e64 s[18:19], s33, v2
                                        ; implicit-def: $vgpr64
	s_and_saveexec_b64 s[20:21], s[18:19]
	s_cbranch_execz .LBB6_21
; %bb.20:
	v_add_co_u32_e32 v2, vcc, 0x5000, v0
	s_nop 1
	v_addc_co_u32_e32 v3, vcc, 0, v1, vcc
	global_load_dwordx2 v[64:65], v[2:3], off
.LBB6_21:
	s_or_b64 exec, exec, s[20:21]
	v_add_u32_e32 v2, 0xb00, v32
	v_cmp_gt_i32_e64 s[20:21], s33, v2
                                        ; implicit-def: $vgpr68
	s_and_saveexec_b64 s[22:23], s[20:21]
	s_cbranch_execz .LBB6_23
; %bb.22:
	v_add_co_u32_e32 v2, vcc, 0x5000, v0
	s_nop 1
	v_addc_co_u32_e32 v3, vcc, 0, v1, vcc
	global_load_dwordx2 v[68:69], v[2:3], off offset:2048
.LBB6_23:
	s_or_b64 exec, exec, s[22:23]
	v_or_b32_e32 v50, 0xc00, v32
	v_cmp_gt_i32_e64 s[22:23], s33, v50
	v_ashrrev_i32_e32 v51, 31, v50
                                        ; implicit-def: $vgpr70
	s_and_saveexec_b64 s[24:25], s[22:23]
	s_cbranch_execz .LBB6_25
; %bb.24:
	v_lshl_add_u64 v[2:3], v[50:51], 3, s[58:59]
	global_load_dwordx2 v[70:71], v[2:3], off
.LBB6_25:
	s_or_b64 exec, exec, s[24:25]
	v_add_u32_e32 v2, 0xd00, v32
	v_cmp_gt_i32_e64 s[24:25], s33, v2
                                        ; implicit-def: $vgpr74
	s_and_saveexec_b64 s[26:27], s[24:25]
	s_cbranch_execz .LBB6_27
; %bb.26:
	v_add_co_u32_e32 v2, vcc, 0x6000, v0
	s_nop 1
	v_addc_co_u32_e32 v3, vcc, 0, v1, vcc
	global_load_dwordx2 v[74:75], v[2:3], off offset:2048
.LBB6_27:
	s_or_b64 exec, exec, s[26:27]
	v_add_u32_e32 v2, 0xe00, v32
	v_cmp_gt_i32_e64 s[26:27], s33, v2
                                        ; implicit-def: $vgpr76
	s_and_saveexec_b64 s[28:29], s[26:27]
	s_cbranch_execz .LBB6_29
; %bb.28:
	v_add_co_u32_e32 v2, vcc, 0x7000, v0
	s_nop 1
	v_addc_co_u32_e32 v3, vcc, 0, v1, vcc
	global_load_dwordx2 v[76:77], v[2:3], off
.LBB6_29:
	s_or_b64 exec, exec, s[28:29]
	v_add_u32_e32 v2, 0xf00, v32
	v_cmp_gt_i32_e64 s[28:29], s33, v2
                                        ; implicit-def: $vgpr78
	s_and_saveexec_b64 s[30:31], s[28:29]
	s_cbranch_execz .LBB6_31
; %bb.30:
	v_add_co_u32_e32 v2, vcc, 0x7000, v0
	s_nop 1
	v_addc_co_u32_e32 v3, vcc, 0, v1, vcc
	global_load_dwordx2 v[78:79], v[2:3], off offset:2048
.LBB6_31:
	s_or_b64 exec, exec, s[30:31]
	v_or_b32_e32 v56, 0x1000, v32
	v_cmp_gt_i32_e64 s[30:31], s33, v56
	v_ashrrev_i32_e32 v57, 31, v56
                                        ; implicit-def: $vgpr80
	s_and_saveexec_b64 s[34:35], s[30:31]
	s_cbranch_execz .LBB6_33
; %bb.32:
	v_lshl_add_u64 v[2:3], v[56:57], 3, s[58:59]
	global_load_dwordx2 v[80:81], v[2:3], off
.LBB6_33:
	s_or_b64 exec, exec, s[34:35]
	v_add_u32_e32 v2, 0x1100, v32
	v_cmp_gt_i32_e64 s[34:35], s33, v2
                                        ; implicit-def: $vgpr82
	s_and_saveexec_b64 s[36:37], s[34:35]
	s_cbranch_execz .LBB6_35
; %bb.34:
	v_add_co_u32_e32 v2, vcc, 0x8000, v0
	s_nop 1
	v_addc_co_u32_e32 v3, vcc, 0, v1, vcc
	global_load_dwordx2 v[82:83], v[2:3], off offset:2048
.LBB6_35:
	s_or_b64 exec, exec, s[36:37]
	v_add_u32_e32 v2, 0x1200, v32
	v_cmp_gt_i32_e64 s[36:37], s33, v2
                                        ; implicit-def: $vgpr84
	s_and_saveexec_b64 s[38:39], s[36:37]
	s_cbranch_execz .LBB6_37
; %bb.36:
	v_add_co_u32_e32 v2, vcc, 0x9000, v0
	s_nop 1
	v_addc_co_u32_e32 v3, vcc, 0, v1, vcc
	global_load_dwordx2 v[84:85], v[2:3], off
.LBB6_37:
	s_or_b64 exec, exec, s[38:39]
	v_add_u32_e32 v2, 0x1300, v32
	v_cmp_gt_i32_e64 s[38:39], s33, v2
                                        ; implicit-def: $vgpr86
	s_and_saveexec_b64 s[40:41], s[38:39]
	s_cbranch_execz .LBB6_39
; %bb.38:
	v_add_co_u32_e32 v2, vcc, 0x9000, v0
	s_nop 1
	v_addc_co_u32_e32 v3, vcc, 0, v1, vcc
	global_load_dwordx2 v[86:87], v[2:3], off offset:2048
.LBB6_39:
	s_or_b64 exec, exec, s[40:41]
	v_or_b32_e32 v60, 0x1400, v32
	v_cmp_gt_i32_e64 s[40:41], s33, v60
	v_ashrrev_i32_e32 v61, 31, v60
                                        ; implicit-def: $vgpr88
	s_and_saveexec_b64 s[42:43], s[40:41]
	s_cbranch_execz .LBB6_41
; %bb.40:
	v_lshl_add_u64 v[2:3], v[60:61], 3, s[58:59]
	global_load_dwordx2 v[88:89], v[2:3], off
.LBB6_41:
	s_or_b64 exec, exec, s[42:43]
	v_add_u32_e32 v2, 0x1500, v32
	v_cmp_gt_i32_e64 s[42:43], s33, v2
                                        ; implicit-def: $vgpr90
	s_and_saveexec_b64 s[44:45], s[42:43]
	s_cbranch_execz .LBB6_43
; %bb.42:
	v_add_co_u32_e32 v2, vcc, 0xa000, v0
	s_nop 1
	v_addc_co_u32_e32 v3, vcc, 0, v1, vcc
	global_load_dwordx2 v[90:91], v[2:3], off offset:2048
.LBB6_43:
	s_or_b64 exec, exec, s[44:45]
	v_add_u32_e32 v2, 0x1600, v32
	v_cmp_gt_i32_e64 s[44:45], s33, v2
                                        ; implicit-def: $vgpr92
	s_and_saveexec_b64 s[46:47], s[44:45]
	s_cbranch_execz .LBB6_45
; %bb.44:
	v_add_co_u32_e32 v2, vcc, 0xb000, v0
	s_nop 1
	v_addc_co_u32_e32 v3, vcc, 0, v1, vcc
	global_load_dwordx2 v[92:93], v[2:3], off
.LBB6_45:
	s_or_b64 exec, exec, s[46:47]
	v_add_u32_e32 v2, 0x1700, v32
	v_cmp_gt_i32_e64 s[46:47], s33, v2
                                        ; implicit-def: $vgpr94
	s_and_saveexec_b64 s[48:49], s[46:47]
	s_cbranch_execz .LBB6_47
; %bb.46:
	v_add_co_u32_e32 v2, vcc, 0xb000, v0
	s_nop 1
	v_addc_co_u32_e32 v3, vcc, 0, v1, vcc
	global_load_dwordx2 v[94:95], v[2:3], off offset:2048
.LBB6_47:
	s_or_b64 exec, exec, s[48:49]
	v_or_b32_e32 v66, 0x1800, v32
	v_cmp_gt_i32_e64 s[48:49], s33, v66
	v_ashrrev_i32_e32 v67, 31, v66
                                        ; implicit-def: $vgpr96
	s_and_saveexec_b64 s[50:51], s[48:49]
	s_cbranch_execz .LBB6_49
; %bb.48:
	v_lshl_add_u64 v[2:3], v[66:67], 3, s[58:59]
	global_load_dwordx2 v[96:97], v[2:3], off
.LBB6_49:
	s_or_b64 exec, exec, s[50:51]
	v_add_u32_e32 v2, 0x1900, v32
	v_cmp_gt_i32_e64 s[50:51], s33, v2
                                        ; implicit-def: $vgpr98
	s_and_saveexec_b64 s[52:53], s[50:51]
	s_cbranch_execz .LBB6_51
; %bb.50:
	v_add_co_u32_e32 v2, vcc, 0xc000, v0
	s_nop 1
	v_addc_co_u32_e32 v3, vcc, 0, v1, vcc
	global_load_dwordx2 v[98:99], v[2:3], off offset:2048
.LBB6_51:
	s_or_b64 exec, exec, s[52:53]
	v_add_u32_e32 v2, 0x1a00, v32
	v_cmp_gt_i32_e64 s[52:53], s33, v2
                                        ; implicit-def: $vgpr100
	s_and_saveexec_b64 s[54:55], s[52:53]
	s_cbranch_execz .LBB6_53
; %bb.52:
	v_add_co_u32_e32 v2, vcc, 0xd000, v0
	s_nop 1
	v_addc_co_u32_e32 v3, vcc, 0, v1, vcc
	global_load_dwordx2 v[100:101], v[2:3], off
.LBB6_53:
	s_or_b64 exec, exec, s[54:55]
	v_add_u32_e32 v2, 0x1b00, v32
	v_cmp_gt_i32_e64 s[54:55], s33, v2
                                        ; implicit-def: $vgpr102
	s_and_saveexec_b64 s[56:57], s[54:55]
	s_cbranch_execz .LBB6_55
; %bb.54:
	v_add_co_u32_e32 v2, vcc, 0xd000, v0
	s_nop 1
	v_addc_co_u32_e32 v3, vcc, 0, v1, vcc
	global_load_dwordx2 v[102:103], v[2:3], off offset:2048
.LBB6_55:
	s_or_b64 exec, exec, s[56:57]
	v_or_b32_e32 v72, 0x1c00, v32
	v_cmp_gt_i32_e64 s[56:57], s33, v72
	v_ashrrev_i32_e32 v73, 31, v72
                                        ; implicit-def: $vgpr104
	s_and_saveexec_b64 s[60:61], s[56:57]
	s_cbranch_execz .LBB6_57
; %bb.56:
	v_lshl_add_u64 v[2:3], v[72:73], 3, s[58:59]
	global_load_dwordx2 v[104:105], v[2:3], off
.LBB6_57:
	s_or_b64 exec, exec, s[60:61]
	v_add_u32_e32 v2, 0x1d00, v32
	v_cmp_gt_i32_e64 s[58:59], s33, v2
                                        ; implicit-def: $vgpr106
	s_and_saveexec_b64 s[60:61], s[58:59]
	s_cbranch_execz .LBB6_59
; %bb.58:
	v_add_co_u32_e32 v2, vcc, 0xe000, v0
	s_nop 1
	v_addc_co_u32_e32 v3, vcc, 0, v1, vcc
	global_load_dwordx2 v[106:107], v[2:3], off offset:2048
.LBB6_59:
	s_or_b64 exec, exec, s[60:61]
	s_load_dwordx2 s[70:71], s[0:1], 0x10
	v_add_u32_e32 v2, 0x1e00, v32
	v_cmp_gt_i32_e64 s[60:61], s33, v2
                                        ; implicit-def: $vgpr108
	s_and_saveexec_b64 s[62:63], s[60:61]
	s_cbranch_execz .LBB6_61
; %bb.60:
	v_add_co_u32_e32 v2, vcc, 0xf000, v0
	s_nop 1
	v_addc_co_u32_e32 v3, vcc, 0, v1, vcc
	global_load_dwordx2 v[108:109], v[2:3], off
.LBB6_61:
	s_or_b64 exec, exec, s[62:63]
	s_load_dwordx2 s[68:69], s[0:1], 0x0
	v_add_u32_e32 v2, 0x1f00, v32
	v_cmp_gt_i32_e64 s[62:63], s33, v2
                                        ; implicit-def: $vgpr110
	s_and_saveexec_b64 s[0:1], s[62:63]
	s_cbranch_execz .LBB6_63
; %bb.62:
	v_add_co_u32_e32 v0, vcc, 0xf000, v0
	s_nop 1
	v_addc_co_u32_e32 v1, vcc, 0, v1, vcc
	global_load_dwordx2 v[110:111], v[0:1], off offset:2048
.LBB6_63:
	s_or_b64 exec, exec, s[0:1]
	s_waitcnt lgkmcnt(0)
	s_load_dwordx2 s[76:77], s[70:71], 0x12b8
	v_mov_b32_e32 v0, 0
	v_mov_b32_e32 v1, v0
	s_mov_b64 s[72:73], 0
	v_mov_b32_e32 v2, v0
	v_mov_b32_e32 v3, v0
	v_mov_b32_e32 v4, v0
	v_mov_b32_e32 v5, v0
	v_mov_b32_e32 v6, v0
	v_mov_b32_e32 v7, v0
	v_mov_b32_e32 v8, v0
	v_mov_b32_e32 v9, v0
	v_mov_b32_e32 v10, v0
	v_mov_b32_e32 v11, v0
	v_mov_b32_e32 v12, v0
	v_mov_b32_e32 v13, v0
	v_mov_b32_e32 v14, v0
	v_mov_b32_e32 v15, v0
	v_mov_b32_e32 v16, v0
	v_mov_b32_e32 v17, v0
	v_mov_b32_e32 v18, v0
	v_mov_b32_e32 v19, v0
	v_mov_b32_e32 v20, v0
	v_mov_b32_e32 v21, v0
	v_mov_b32_e32 v22, v0
	v_mov_b32_e32 v23, v0
	v_mov_b32_e32 v24, v0
	v_mov_b32_e32 v25, v0
	v_mov_b32_e32 v26, v0
	v_mov_b32_e32 v27, v0
	v_mov_b32_e32 v28, v0
	v_mov_b32_e32 v29, v0
	v_mov_b32_e32 v30, v0
	v_mov_b32_e32 v31, v0
	s_branch .LBB6_66
.LBB6_64:                               ;   in Loop: Header=BB6_66 Depth=1
	s_or_b64 exec, exec, s[66:67]
.LBB6_65:                               ;   in Loop: Header=BB6_66 Depth=1
	s_or_b64 exec, exec, s[0:1]
	v_subrev_f32_e32 v113, s75, v37
	v_cmp_gt_f32_e64 s[0:1], s75, v37
	v_cmp_ngt_f32_e64 s[66:67], s77, v37
	v_fma_f32 v113, v112, v113, s74
	s_xor_b64 s[0:1], s[0:1], s[66:67]
	v_cmp_lt_f32_e32 vcc, v36, v113
	s_xor_b64 s[66:67], s[0:1], -1
	v_cmp_eq_u32_e64 s[0:1], 0, v1
	s_and_b64 vcc, s[66:67], vcc
	v_cmp_ngt_f32_e64 s[66:67], s77, v39
	v_cndmask_b32_e64 v113, 0, 1, s[0:1]
	v_cndmask_b32_e32 v1, v1, v113, vcc
	v_subrev_f32_e32 v113, s75, v39
	v_cmp_gt_f32_e64 s[0:1], s75, v39
	v_fma_f32 v113, v112, v113, s74
	s_xor_b64 s[0:1], s[0:1], s[66:67]
	v_cmp_lt_f32_e32 vcc, v38, v113
	s_xor_b64 s[66:67], s[0:1], -1
	v_cmp_eq_u32_e64 s[0:1], 0, v2
	s_and_b64 vcc, s[66:67], vcc
	v_cmp_ngt_f32_e64 s[66:67], s77, v43
	v_cndmask_b32_e64 v113, 0, 1, s[0:1]
	v_cndmask_b32_e32 v2, v2, v113, vcc
	v_subrev_f32_e32 v113, s75, v43
	v_cmp_gt_f32_e64 s[0:1], s75, v43
	;; [unrolled: 11-line block ×30, first 2 shown]
	v_fma_f32 v112, v112, v113, s74
	s_xor_b64 s[0:1], s[0:1], s[66:67]
	v_cmp_lt_f32_e32 vcc, v110, v112
	s_xor_b64 s[66:67], s[0:1], -1
	s_and_b64 vcc, s[66:67], vcc
	v_cmp_eq_u32_e64 s[0:1], 0, v31
	s_add_u32 s72, s72, 8
	s_addc_u32 s73, s73, 0
	v_cndmask_b32_e64 v112, 0, 1, s[0:1]
	v_cndmask_b32_e32 v31, v31, v112, vcc
	s_cmpk_lg_i32 s72, 0x12c0
	s_mov_b64 s[76:77], s[74:75]
	s_cbranch_scc0 .LBB6_69
.LBB6_66:                               ; =>This Inner Loop Header: Depth=1
	s_add_u32 s0, s70, s72
	s_addc_u32 s1, s71, s73
	s_load_dwordx2 s[74:75], s[0:1], 0x0
	s_waitcnt vmcnt(0) lgkmcnt(0)
	v_cmp_ngt_f32_e32 vcc, s77, v35
	v_mov_b64_e32 v[112:113], s[74:75]
	v_pk_add_f32 v[112:113], s[76:77], v[112:113] neg_lo:[0,1] neg_hi:[0,1]
	v_cmp_gt_f32_e64 s[0:1], s75, v35
	v_div_scale_f32 v114, s[66:67], v113, v113, v112
	v_rcp_f32_e32 v115, v114
	s_xor_b64 s[0:1], s[0:1], vcc
	v_div_scale_f32 v116, vcc, v112, v113, v112
	v_fma_f32 v117, -v114, v115, 1.0
	v_fmac_f32_e32 v115, v117, v115
	v_mul_f32_e32 v117, v116, v115
	v_fma_f32 v118, -v114, v117, v116
	v_fmac_f32_e32 v117, v118, v115
	v_fma_f32 v114, -v114, v117, v116
	v_div_fmas_f32 v114, v114, v115, v117
	v_div_fixup_f32 v112, v114, v113, v112
	s_xor_b64 s[66:67], s[0:1], -1
	s_and_saveexec_b64 s[0:1], s[66:67]
	s_cbranch_execz .LBB6_65
; %bb.67:                               ;   in Loop: Header=BB6_66 Depth=1
	v_subrev_f32_e32 v113, s75, v35
	v_fma_f32 v113, v112, v113, s74
	v_cmp_lt_f32_e32 vcc, v34, v113
	s_and_saveexec_b64 s[66:67], vcc
	s_cbranch_execz .LBB6_64
; %bb.68:                               ;   in Loop: Header=BB6_66 Depth=1
	v_cmp_eq_u32_e32 vcc, 0, v0
	s_nop 1
	v_cndmask_b32_e64 v0, 0, 1, vcc
	s_branch .LBB6_64
.LBB6_69:
	v_lshl_add_u64 v[32:33], v[32:33], 2, s[68:69]
	global_store_dword v[32:33], v0, off
	s_and_saveexec_b64 s[0:1], s[64:65]
	s_cbranch_execnz .LBB6_102
; %bb.70:
	s_or_b64 exec, exec, s[0:1]
	s_and_saveexec_b64 s[0:1], s[2:3]
	s_cbranch_execnz .LBB6_103
.LBB6_71:
	s_or_b64 exec, exec, s[0:1]
	s_and_saveexec_b64 s[0:1], s[4:5]
	s_cbranch_execnz .LBB6_104
.LBB6_72:
	s_or_b64 exec, exec, s[0:1]
	s_and_saveexec_b64 s[0:1], s[6:7]
	s_cbranch_execnz .LBB6_105
.LBB6_73:
	s_or_b64 exec, exec, s[0:1]
	s_and_saveexec_b64 s[0:1], s[8:9]
	s_cbranch_execnz .LBB6_106
.LBB6_74:
	s_or_b64 exec, exec, s[0:1]
	s_and_saveexec_b64 s[0:1], s[10:11]
	s_cbranch_execnz .LBB6_107
.LBB6_75:
	s_or_b64 exec, exec, s[0:1]
	s_and_saveexec_b64 s[0:1], s[12:13]
	s_cbranch_execnz .LBB6_108
.LBB6_76:
	s_or_b64 exec, exec, s[0:1]
	s_and_saveexec_b64 s[0:1], s[14:15]
	s_cbranch_execnz .LBB6_109
.LBB6_77:
	s_or_b64 exec, exec, s[0:1]
	s_and_saveexec_b64 s[0:1], s[16:17]
	s_cbranch_execnz .LBB6_110
.LBB6_78:
	s_or_b64 exec, exec, s[0:1]
	s_and_saveexec_b64 s[0:1], s[18:19]
	s_cbranch_execnz .LBB6_111
.LBB6_79:
	s_or_b64 exec, exec, s[0:1]
	s_and_saveexec_b64 s[0:1], s[20:21]
	s_cbranch_execnz .LBB6_112
.LBB6_80:
	s_or_b64 exec, exec, s[0:1]
	s_and_saveexec_b64 s[0:1], s[22:23]
	s_cbranch_execnz .LBB6_113
.LBB6_81:
	s_or_b64 exec, exec, s[0:1]
	s_and_saveexec_b64 s[0:1], s[24:25]
	s_cbranch_execnz .LBB6_114
.LBB6_82:
	s_or_b64 exec, exec, s[0:1]
	s_and_saveexec_b64 s[0:1], s[26:27]
	s_cbranch_execnz .LBB6_115
.LBB6_83:
	s_or_b64 exec, exec, s[0:1]
	s_and_saveexec_b64 s[0:1], s[28:29]
	s_cbranch_execnz .LBB6_116
.LBB6_84:
	s_or_b64 exec, exec, s[0:1]
	s_and_saveexec_b64 s[0:1], s[30:31]
	s_cbranch_execnz .LBB6_117
.LBB6_85:
	s_or_b64 exec, exec, s[0:1]
	s_and_saveexec_b64 s[0:1], s[34:35]
	s_cbranch_execnz .LBB6_118
.LBB6_86:
	s_or_b64 exec, exec, s[0:1]
	s_and_saveexec_b64 s[0:1], s[36:37]
	s_cbranch_execnz .LBB6_119
.LBB6_87:
	s_or_b64 exec, exec, s[0:1]
	s_and_saveexec_b64 s[0:1], s[38:39]
	s_cbranch_execnz .LBB6_120
.LBB6_88:
	s_or_b64 exec, exec, s[0:1]
	s_and_saveexec_b64 s[0:1], s[40:41]
	s_cbranch_execnz .LBB6_121
.LBB6_89:
	s_or_b64 exec, exec, s[0:1]
	s_and_saveexec_b64 s[0:1], s[42:43]
	s_cbranch_execnz .LBB6_122
.LBB6_90:
	s_or_b64 exec, exec, s[0:1]
	s_and_saveexec_b64 s[0:1], s[44:45]
	s_cbranch_execnz .LBB6_123
.LBB6_91:
	s_or_b64 exec, exec, s[0:1]
	s_and_saveexec_b64 s[0:1], s[46:47]
	s_cbranch_execnz .LBB6_124
.LBB6_92:
	s_or_b64 exec, exec, s[0:1]
	s_and_saveexec_b64 s[0:1], s[48:49]
	s_cbranch_execnz .LBB6_125
.LBB6_93:
	s_or_b64 exec, exec, s[0:1]
	s_and_saveexec_b64 s[0:1], s[50:51]
	s_cbranch_execnz .LBB6_126
.LBB6_94:
	s_or_b64 exec, exec, s[0:1]
	s_and_saveexec_b64 s[0:1], s[52:53]
	s_cbranch_execnz .LBB6_127
.LBB6_95:
	s_or_b64 exec, exec, s[0:1]
	s_and_saveexec_b64 s[0:1], s[54:55]
	s_cbranch_execnz .LBB6_128
.LBB6_96:
	s_or_b64 exec, exec, s[0:1]
	s_and_saveexec_b64 s[0:1], s[56:57]
	s_cbranch_execnz .LBB6_129
.LBB6_97:
	s_or_b64 exec, exec, s[0:1]
	s_and_saveexec_b64 s[0:1], s[58:59]
	s_cbranch_execnz .LBB6_130
.LBB6_98:
	s_or_b64 exec, exec, s[0:1]
	s_and_saveexec_b64 s[0:1], s[60:61]
	s_cbranch_execnz .LBB6_131
.LBB6_99:
	s_or_b64 exec, exec, s[0:1]
	s_and_b64 exec, exec, s[62:63]
	s_cbranch_execz .LBB6_101
.LBB6_100:
	v_add_co_u32_e32 v0, vcc, 0x7000, v32
	s_nop 1
	v_addc_co_u32_e32 v1, vcc, 0, v33, vcc
	global_store_dword v[0:1], v31, off offset:3072
.LBB6_101:
	s_endpgm
.LBB6_102:
	global_store_dword v[32:33], v1, off offset:1024
	s_or_b64 exec, exec, s[0:1]
	s_and_saveexec_b64 s[0:1], s[2:3]
	s_cbranch_execz .LBB6_71
.LBB6_103:
	global_store_dword v[32:33], v2, off offset:2048
	s_or_b64 exec, exec, s[0:1]
	s_and_saveexec_b64 s[0:1], s[4:5]
	s_cbranch_execz .LBB6_72
.LBB6_104:
	global_store_dword v[32:33], v3, off offset:3072
	s_or_b64 exec, exec, s[0:1]
	s_and_saveexec_b64 s[0:1], s[6:7]
	s_cbranch_execz .LBB6_73
.LBB6_105:
	v_lshl_add_u64 v[0:1], v[40:41], 2, s[68:69]
	global_store_dword v[0:1], v4, off
	s_or_b64 exec, exec, s[0:1]
	s_and_saveexec_b64 s[0:1], s[8:9]
	s_cbranch_execz .LBB6_74
.LBB6_106:
	v_add_co_u32_e32 v0, vcc, 0x1000, v32
	s_nop 1
	v_addc_co_u32_e32 v1, vcc, 0, v33, vcc
	global_store_dword v[0:1], v5, off offset:1024
	s_or_b64 exec, exec, s[0:1]
	s_and_saveexec_b64 s[0:1], s[10:11]
	s_cbranch_execz .LBB6_75
.LBB6_107:
	v_add_co_u32_e32 v0, vcc, 0x1000, v32
	s_nop 1
	v_addc_co_u32_e32 v1, vcc, 0, v33, vcc
	global_store_dword v[0:1], v6, off offset:2048
	s_or_b64 exec, exec, s[0:1]
	s_and_saveexec_b64 s[0:1], s[12:13]
	s_cbranch_execz .LBB6_76
.LBB6_108:
	v_add_co_u32_e32 v0, vcc, 0x1000, v32
	s_nop 1
	v_addc_co_u32_e32 v1, vcc, 0, v33, vcc
	global_store_dword v[0:1], v7, off offset:3072
	s_or_b64 exec, exec, s[0:1]
	s_and_saveexec_b64 s[0:1], s[14:15]
	s_cbranch_execz .LBB6_77
.LBB6_109:
	v_lshl_add_u64 v[0:1], v[44:45], 2, s[68:69]
	global_store_dword v[0:1], v8, off
	s_or_b64 exec, exec, s[0:1]
	s_and_saveexec_b64 s[0:1], s[16:17]
	s_cbranch_execz .LBB6_78
.LBB6_110:
	v_add_co_u32_e32 v0, vcc, 0x2000, v32
	s_nop 1
	v_addc_co_u32_e32 v1, vcc, 0, v33, vcc
	global_store_dword v[0:1], v9, off offset:1024
	s_or_b64 exec, exec, s[0:1]
	s_and_saveexec_b64 s[0:1], s[18:19]
	s_cbranch_execz .LBB6_79
.LBB6_111:
	v_add_co_u32_e32 v0, vcc, 0x2000, v32
	s_nop 1
	v_addc_co_u32_e32 v1, vcc, 0, v33, vcc
	global_store_dword v[0:1], v10, off offset:2048
	s_or_b64 exec, exec, s[0:1]
	s_and_saveexec_b64 s[0:1], s[20:21]
	s_cbranch_execz .LBB6_80
.LBB6_112:
	v_add_co_u32_e32 v0, vcc, 0x2000, v32
	s_nop 1
	v_addc_co_u32_e32 v1, vcc, 0, v33, vcc
	global_store_dword v[0:1], v11, off offset:3072
	s_or_b64 exec, exec, s[0:1]
	s_and_saveexec_b64 s[0:1], s[22:23]
	s_cbranch_execz .LBB6_81
.LBB6_113:
	v_lshl_add_u64 v[0:1], v[50:51], 2, s[68:69]
	global_store_dword v[0:1], v12, off
	s_or_b64 exec, exec, s[0:1]
	s_and_saveexec_b64 s[0:1], s[24:25]
	s_cbranch_execz .LBB6_82
.LBB6_114:
	v_add_co_u32_e32 v0, vcc, 0x3000, v32
	s_nop 1
	v_addc_co_u32_e32 v1, vcc, 0, v33, vcc
	global_store_dword v[0:1], v13, off offset:1024
	s_or_b64 exec, exec, s[0:1]
	s_and_saveexec_b64 s[0:1], s[26:27]
	s_cbranch_execz .LBB6_83
.LBB6_115:
	v_add_co_u32_e32 v0, vcc, 0x3000, v32
	s_nop 1
	v_addc_co_u32_e32 v1, vcc, 0, v33, vcc
	global_store_dword v[0:1], v14, off offset:2048
	s_or_b64 exec, exec, s[0:1]
	s_and_saveexec_b64 s[0:1], s[28:29]
	s_cbranch_execz .LBB6_84
.LBB6_116:
	v_add_co_u32_e32 v0, vcc, 0x3000, v32
	s_nop 1
	v_addc_co_u32_e32 v1, vcc, 0, v33, vcc
	global_store_dword v[0:1], v15, off offset:3072
	s_or_b64 exec, exec, s[0:1]
	s_and_saveexec_b64 s[0:1], s[30:31]
	s_cbranch_execz .LBB6_85
.LBB6_117:
	v_lshl_add_u64 v[0:1], v[56:57], 2, s[68:69]
	global_store_dword v[0:1], v16, off
	s_or_b64 exec, exec, s[0:1]
	s_and_saveexec_b64 s[0:1], s[34:35]
	s_cbranch_execz .LBB6_86
.LBB6_118:
	v_add_co_u32_e32 v0, vcc, 0x4000, v32
	s_nop 1
	v_addc_co_u32_e32 v1, vcc, 0, v33, vcc
	global_store_dword v[0:1], v17, off offset:1024
	s_or_b64 exec, exec, s[0:1]
	s_and_saveexec_b64 s[0:1], s[36:37]
	s_cbranch_execz .LBB6_87
.LBB6_119:
	v_add_co_u32_e32 v0, vcc, 0x4000, v32
	s_nop 1
	v_addc_co_u32_e32 v1, vcc, 0, v33, vcc
	global_store_dword v[0:1], v18, off offset:2048
	s_or_b64 exec, exec, s[0:1]
	s_and_saveexec_b64 s[0:1], s[38:39]
	s_cbranch_execz .LBB6_88
.LBB6_120:
	v_add_co_u32_e32 v0, vcc, 0x4000, v32
	s_nop 1
	v_addc_co_u32_e32 v1, vcc, 0, v33, vcc
	global_store_dword v[0:1], v19, off offset:3072
	s_or_b64 exec, exec, s[0:1]
	s_and_saveexec_b64 s[0:1], s[40:41]
	s_cbranch_execz .LBB6_89
.LBB6_121:
	v_lshl_add_u64 v[0:1], v[60:61], 2, s[68:69]
	global_store_dword v[0:1], v20, off
	s_or_b64 exec, exec, s[0:1]
	s_and_saveexec_b64 s[0:1], s[42:43]
	s_cbranch_execz .LBB6_90
.LBB6_122:
	v_add_co_u32_e32 v0, vcc, 0x5000, v32
	s_nop 1
	v_addc_co_u32_e32 v1, vcc, 0, v33, vcc
	global_store_dword v[0:1], v21, off offset:1024
	s_or_b64 exec, exec, s[0:1]
	s_and_saveexec_b64 s[0:1], s[44:45]
	s_cbranch_execz .LBB6_91
.LBB6_123:
	v_add_co_u32_e32 v0, vcc, 0x5000, v32
	s_nop 1
	v_addc_co_u32_e32 v1, vcc, 0, v33, vcc
	global_store_dword v[0:1], v22, off offset:2048
	s_or_b64 exec, exec, s[0:1]
	s_and_saveexec_b64 s[0:1], s[46:47]
	s_cbranch_execz .LBB6_92
.LBB6_124:
	v_add_co_u32_e32 v0, vcc, 0x5000, v32
	s_nop 1
	v_addc_co_u32_e32 v1, vcc, 0, v33, vcc
	global_store_dword v[0:1], v23, off offset:3072
	s_or_b64 exec, exec, s[0:1]
	s_and_saveexec_b64 s[0:1], s[48:49]
	s_cbranch_execz .LBB6_93
.LBB6_125:
	v_lshl_add_u64 v[0:1], v[66:67], 2, s[68:69]
	global_store_dword v[0:1], v24, off
	s_or_b64 exec, exec, s[0:1]
	s_and_saveexec_b64 s[0:1], s[50:51]
	s_cbranch_execz .LBB6_94
.LBB6_126:
	v_add_co_u32_e32 v0, vcc, 0x6000, v32
	s_nop 1
	v_addc_co_u32_e32 v1, vcc, 0, v33, vcc
	global_store_dword v[0:1], v25, off offset:1024
	s_or_b64 exec, exec, s[0:1]
	s_and_saveexec_b64 s[0:1], s[52:53]
	s_cbranch_execz .LBB6_95
.LBB6_127:
	v_add_co_u32_e32 v0, vcc, 0x6000, v32
	s_nop 1
	v_addc_co_u32_e32 v1, vcc, 0, v33, vcc
	global_store_dword v[0:1], v26, off offset:2048
	s_or_b64 exec, exec, s[0:1]
	s_and_saveexec_b64 s[0:1], s[54:55]
	s_cbranch_execz .LBB6_96
.LBB6_128:
	v_add_co_u32_e32 v0, vcc, 0x6000, v32
	s_nop 1
	v_addc_co_u32_e32 v1, vcc, 0, v33, vcc
	global_store_dword v[0:1], v27, off offset:3072
	s_or_b64 exec, exec, s[0:1]
	s_and_saveexec_b64 s[0:1], s[56:57]
	s_cbranch_execz .LBB6_97
.LBB6_129:
	v_lshl_add_u64 v[0:1], v[72:73], 2, s[68:69]
	global_store_dword v[0:1], v28, off
	s_or_b64 exec, exec, s[0:1]
	s_and_saveexec_b64 s[0:1], s[58:59]
	s_cbranch_execz .LBB6_98
.LBB6_130:
	v_add_co_u32_e32 v0, vcc, 0x7000, v32
	s_nop 1
	v_addc_co_u32_e32 v1, vcc, 0, v33, vcc
	global_store_dword v[0:1], v29, off offset:1024
	s_or_b64 exec, exec, s[0:1]
	s_and_saveexec_b64 s[0:1], s[60:61]
	s_cbranch_execz .LBB6_99
.LBB6_131:
	v_add_co_u32_e32 v0, vcc, 0x7000, v32
	s_nop 1
	v_addc_co_u32_e32 v1, vcc, 0, v33, vcc
	global_store_dword v[0:1], v30, off offset:2048
	s_or_b64 exec, exec, s[0:1]
	s_and_b64 exec, exec, s[62:63]
	s_cbranch_execnz .LBB6_100
	s_branch .LBB6_101
	.section	.rodata,"a",@progbits
	.p2align	6, 0x0
	.amdhsa_kernel _Z10pnpoly_optILi32EEvPiPK15HIP_vector_typeIfLj2EES4_i
		.amdhsa_group_segment_fixed_size 0
		.amdhsa_private_segment_fixed_size 0
		.amdhsa_kernarg_size 28
		.amdhsa_user_sgpr_count 2
		.amdhsa_user_sgpr_dispatch_ptr 0
		.amdhsa_user_sgpr_queue_ptr 0
		.amdhsa_user_sgpr_kernarg_segment_ptr 1
		.amdhsa_user_sgpr_dispatch_id 0
		.amdhsa_user_sgpr_kernarg_preload_length 0
		.amdhsa_user_sgpr_kernarg_preload_offset 0
		.amdhsa_user_sgpr_private_segment_size 0
		.amdhsa_uses_dynamic_stack 0
		.amdhsa_enable_private_segment 0
		.amdhsa_system_sgpr_workgroup_id_x 1
		.amdhsa_system_sgpr_workgroup_id_y 0
		.amdhsa_system_sgpr_workgroup_id_z 0
		.amdhsa_system_sgpr_workgroup_info 0
		.amdhsa_system_vgpr_workitem_id 0
		.amdhsa_next_free_vgpr 119
		.amdhsa_next_free_sgpr 78
		.amdhsa_accum_offset 120
		.amdhsa_reserve_vcc 1
		.amdhsa_float_round_mode_32 0
		.amdhsa_float_round_mode_16_64 0
		.amdhsa_float_denorm_mode_32 3
		.amdhsa_float_denorm_mode_16_64 3
		.amdhsa_dx10_clamp 1
		.amdhsa_ieee_mode 1
		.amdhsa_fp16_overflow 0
		.amdhsa_tg_split 0
		.amdhsa_exception_fp_ieee_invalid_op 0
		.amdhsa_exception_fp_denorm_src 0
		.amdhsa_exception_fp_ieee_div_zero 0
		.amdhsa_exception_fp_ieee_overflow 0
		.amdhsa_exception_fp_ieee_underflow 0
		.amdhsa_exception_fp_ieee_inexact 0
		.amdhsa_exception_int_div_zero 0
	.end_amdhsa_kernel
	.section	.text._Z10pnpoly_optILi32EEvPiPK15HIP_vector_typeIfLj2EES4_i,"axG",@progbits,_Z10pnpoly_optILi32EEvPiPK15HIP_vector_typeIfLj2EES4_i,comdat
.Lfunc_end6:
	.size	_Z10pnpoly_optILi32EEvPiPK15HIP_vector_typeIfLj2EES4_i, .Lfunc_end6-_Z10pnpoly_optILi32EEvPiPK15HIP_vector_typeIfLj2EES4_i
                                        ; -- End function
	.set _Z10pnpoly_optILi32EEvPiPK15HIP_vector_typeIfLj2EES4_i.num_vgpr, 119
	.set _Z10pnpoly_optILi32EEvPiPK15HIP_vector_typeIfLj2EES4_i.num_agpr, 0
	.set _Z10pnpoly_optILi32EEvPiPK15HIP_vector_typeIfLj2EES4_i.numbered_sgpr, 78
	.set _Z10pnpoly_optILi32EEvPiPK15HIP_vector_typeIfLj2EES4_i.num_named_barrier, 0
	.set _Z10pnpoly_optILi32EEvPiPK15HIP_vector_typeIfLj2EES4_i.private_seg_size, 0
	.set _Z10pnpoly_optILi32EEvPiPK15HIP_vector_typeIfLj2EES4_i.uses_vcc, 1
	.set _Z10pnpoly_optILi32EEvPiPK15HIP_vector_typeIfLj2EES4_i.uses_flat_scratch, 0
	.set _Z10pnpoly_optILi32EEvPiPK15HIP_vector_typeIfLj2EES4_i.has_dyn_sized_stack, 0
	.set _Z10pnpoly_optILi32EEvPiPK15HIP_vector_typeIfLj2EES4_i.has_recursion, 0
	.set _Z10pnpoly_optILi32EEvPiPK15HIP_vector_typeIfLj2EES4_i.has_indirect_call, 0
	.section	.AMDGPU.csdata,"",@progbits
; Kernel info:
; codeLenInByte = 5376
; TotalNumSgprs: 84
; NumVgprs: 119
; NumAgprs: 0
; TotalNumVgprs: 119
; ScratchSize: 0
; MemoryBound: 0
; FloatMode: 240
; IeeeMode: 1
; LDSByteSize: 0 bytes/workgroup (compile time only)
; SGPRBlocks: 10
; VGPRBlocks: 14
; NumSGPRsForWavesPerEU: 84
; NumVGPRsForWavesPerEU: 119
; AccumOffset: 120
; Occupancy: 4
; WaveLimiterHint : 0
; COMPUTE_PGM_RSRC2:SCRATCH_EN: 0
; COMPUTE_PGM_RSRC2:USER_SGPR: 2
; COMPUTE_PGM_RSRC2:TRAP_HANDLER: 0
; COMPUTE_PGM_RSRC2:TGID_X_EN: 1
; COMPUTE_PGM_RSRC2:TGID_Y_EN: 0
; COMPUTE_PGM_RSRC2:TGID_Z_EN: 0
; COMPUTE_PGM_RSRC2:TIDIG_COMP_CNT: 0
; COMPUTE_PGM_RSRC3_GFX90A:ACCUM_OFFSET: 29
; COMPUTE_PGM_RSRC3_GFX90A:TG_SPLIT: 0
	.section	.text._Z10pnpoly_optILi64EEvPiPK15HIP_vector_typeIfLj2EES4_i,"axG",@progbits,_Z10pnpoly_optILi64EEvPiPK15HIP_vector_typeIfLj2EES4_i,comdat
	.protected	_Z10pnpoly_optILi64EEvPiPK15HIP_vector_typeIfLj2EES4_i ; -- Begin function _Z10pnpoly_optILi64EEvPiPK15HIP_vector_typeIfLj2EES4_i
	.globl	_Z10pnpoly_optILi64EEvPiPK15HIP_vector_typeIfLj2EES4_i
	.p2align	8
	.type	_Z10pnpoly_optILi64EEvPiPK15HIP_vector_typeIfLj2EES4_i,@function
_Z10pnpoly_optILi64EEvPiPK15HIP_vector_typeIfLj2EES4_i: ; @_Z10pnpoly_optILi64EEvPiPK15HIP_vector_typeIfLj2EES4_i
; %bb.0:
	s_load_dword s33, s[0:1], 0x18
	v_lshl_or_b32 v8, s2, 14, v0
	s_waitcnt lgkmcnt(0)
	v_cmp_gt_i32_e32 vcc, s33, v8
	s_and_saveexec_b64 s[2:3], vcc
	s_cbranch_execz .LBB7_218
; %bb.1:
	s_load_dwordx2 s[22:23], s[0:1], 0x8
	v_ashrrev_i32_e32 v9, 31, v8
	s_waitcnt lgkmcnt(0)
	v_lshl_add_u64 v[4:5], v[8:9], 3, s[22:23]
	global_load_dwordx2 v[0:1], v[4:5], off
	s_waitcnt vmcnt(0)
	scratch_store_dwordx2 off, v[0:1], off  ; 8-byte Folded Spill
	v_add_u32_e32 v0, 0x100, v8
	v_cmp_gt_i32_e64 s[4:5], s33, v0
                                        ; implicit-def: $vgpr0
	scratch_store_dwordx2 off, v[0:1], off offset:8 ; 8-byte Folded Spill
	s_mov_b64 s[2:3], exec
                                        ; implicit-def: $vgpr127 : SGPR spill to VGPR lane
	v_writelane_b32 v127, s4, 0
	s_nop 1
	v_writelane_b32 v127, s5, 1
	s_and_b64 s[4:5], s[2:3], s[4:5]
	s_mov_b64 exec, s[4:5]
	s_cbranch_execz .LBB7_3
; %bb.2:
	global_load_dwordx2 v[0:1], v[4:5], off offset:2048
	s_waitcnt vmcnt(0)
	scratch_store_dwordx2 off, v[0:1], off offset:8 ; 8-byte Folded Spill
.LBB7_3:
	s_or_b64 exec, exec, s[2:3]
	v_add_u32_e32 v0, 0x200, v8
	v_cmp_gt_i32_e64 s[4:5], s33, v0
                                        ; implicit-def: $vgpr0
	scratch_store_dwordx2 off, v[0:1], off offset:16 ; 8-byte Folded Spill
	s_mov_b64 s[2:3], exec
	v_writelane_b32 v127, s4, 2
	s_nop 1
	v_writelane_b32 v127, s5, 3
	s_and_b64 s[4:5], s[2:3], s[4:5]
	s_mov_b64 exec, s[4:5]
	s_cbranch_execz .LBB7_5
; %bb.4:
	v_add_co_u32_e32 v0, vcc, 0x1000, v4
	s_nop 1
	v_addc_co_u32_e32 v1, vcc, 0, v5, vcc
	global_load_dwordx2 v[0:1], v[0:1], off
	s_waitcnt vmcnt(0)
	scratch_store_dwordx2 off, v[0:1], off offset:16 ; 8-byte Folded Spill
.LBB7_5:
	s_or_b64 exec, exec, s[2:3]
	v_add_u32_e32 v0, 0x300, v8
	v_cmp_gt_i32_e64 s[4:5], s33, v0
                                        ; implicit-def: $vgpr0
	scratch_store_dwordx2 off, v[0:1], off offset:24 ; 8-byte Folded Spill
	s_mov_b64 s[2:3], exec
	v_writelane_b32 v127, s4, 4
	s_nop 1
	v_writelane_b32 v127, s5, 5
	s_and_b64 s[4:5], s[2:3], s[4:5]
	s_mov_b64 exec, s[4:5]
	s_cbranch_execz .LBB7_7
; %bb.6:
	v_add_co_u32_e32 v0, vcc, 0x1000, v4
	s_nop 1
	v_addc_co_u32_e32 v1, vcc, 0, v5, vcc
	global_load_dwordx2 v[0:1], v[0:1], off offset:2048
	s_waitcnt vmcnt(0)
	scratch_store_dwordx2 off, v[0:1], off offset:24 ; 8-byte Folded Spill
.LBB7_7:
	s_or_b64 exec, exec, s[2:3]
	v_or_b32_e32 v0, 0x400, v8
	v_ashrrev_i32_e32 v1, 31, v0
	v_cmp_gt_i32_e64 s[4:5], s33, v0
	scratch_store_dwordx2 off, v[0:1], off offset:296 ; 8-byte Folded Spill
                                        ; implicit-def: $vgpr0
	scratch_store_dwordx2 off, v[0:1], off offset:32 ; 8-byte Folded Spill
	s_mov_b64 s[2:3], exec
	v_writelane_b32 v127, s4, 6
	s_nop 1
	v_writelane_b32 v127, s5, 7
	s_and_b64 s[4:5], s[2:3], s[4:5]
	s_mov_b64 exec, s[4:5]
	s_cbranch_execz .LBB7_9
; %bb.8:
	scratch_load_dwordx2 v[0:1], off, off offset:296 ; 8-byte Folded Reload
	s_waitcnt vmcnt(0)
	v_lshl_add_u64 v[0:1], v[0:1], 3, s[22:23]
	global_load_dwordx2 v[0:1], v[0:1], off
	s_waitcnt vmcnt(0)
	scratch_store_dwordx2 off, v[0:1], off offset:32 ; 8-byte Folded Spill
.LBB7_9:
	s_or_b64 exec, exec, s[2:3]
	v_add_u32_e32 v0, 0x500, v8
	v_cmp_gt_i32_e64 s[4:5], s33, v0
                                        ; implicit-def: $vgpr0
	scratch_store_dwordx2 off, v[0:1], off offset:40 ; 8-byte Folded Spill
	s_mov_b64 s[2:3], exec
	v_writelane_b32 v127, s4, 8
	s_nop 1
	v_writelane_b32 v127, s5, 9
	s_and_b64 s[4:5], s[2:3], s[4:5]
	s_mov_b64 exec, s[4:5]
	s_cbranch_execz .LBB7_11
; %bb.10:
	v_add_co_u32_e32 v0, vcc, 0x2000, v4
	s_nop 1
	v_addc_co_u32_e32 v1, vcc, 0, v5, vcc
	global_load_dwordx2 v[0:1], v[0:1], off offset:2048
	s_waitcnt vmcnt(0)
	scratch_store_dwordx2 off, v[0:1], off offset:40 ; 8-byte Folded Spill
.LBB7_11:
	s_or_b64 exec, exec, s[2:3]
	v_add_u32_e32 v0, 0x600, v8
	v_cmp_gt_i32_e64 s[4:5], s33, v0
                                        ; implicit-def: $vgpr0
	scratch_store_dwordx2 off, v[0:1], off offset:48 ; 8-byte Folded Spill
	s_mov_b64 s[2:3], exec
	v_writelane_b32 v127, s4, 10
	s_nop 1
	v_writelane_b32 v127, s5, 11
	s_and_b64 s[4:5], s[2:3], s[4:5]
	s_mov_b64 exec, s[4:5]
	s_cbranch_execz .LBB7_13
; %bb.12:
	v_add_co_u32_e32 v0, vcc, 0x3000, v4
	s_nop 1
	v_addc_co_u32_e32 v1, vcc, 0, v5, vcc
	global_load_dwordx2 v[0:1], v[0:1], off
	s_waitcnt vmcnt(0)
	scratch_store_dwordx2 off, v[0:1], off offset:48 ; 8-byte Folded Spill
.LBB7_13:
	s_or_b64 exec, exec, s[2:3]
	v_add_u32_e32 v0, 0x700, v8
	v_cmp_gt_i32_e64 s[4:5], s33, v0
                                        ; implicit-def: $vgpr0
	scratch_store_dwordx2 off, v[0:1], off offset:56 ; 8-byte Folded Spill
	s_mov_b64 s[2:3], exec
	v_writelane_b32 v127, s4, 12
	s_nop 1
	v_writelane_b32 v127, s5, 13
	s_and_b64 s[4:5], s[2:3], s[4:5]
	s_mov_b64 exec, s[4:5]
	s_cbranch_execz .LBB7_15
; %bb.14:
	v_add_co_u32_e32 v0, vcc, 0x3000, v4
	s_nop 1
	v_addc_co_u32_e32 v1, vcc, 0, v5, vcc
	global_load_dwordx2 v[0:1], v[0:1], off offset:2048
	s_waitcnt vmcnt(0)
	scratch_store_dwordx2 off, v[0:1], off offset:56 ; 8-byte Folded Spill
.LBB7_15:
	s_or_b64 exec, exec, s[2:3]
	v_or_b32_e32 v0, 0x800, v8
	v_ashrrev_i32_e32 v1, 31, v0
	v_cmp_gt_i32_e64 s[4:5], s33, v0
	scratch_store_dwordx2 off, v[0:1], off offset:304 ; 8-byte Folded Spill
                                        ; implicit-def: $vgpr0
	scratch_store_dwordx2 off, v[0:1], off offset:64 ; 8-byte Folded Spill
	s_mov_b64 s[2:3], exec
	v_writelane_b32 v127, s4, 14
	s_nop 1
	v_writelane_b32 v127, s5, 15
	s_and_b64 s[4:5], s[2:3], s[4:5]
	s_mov_b64 exec, s[4:5]
	s_cbranch_execz .LBB7_17
; %bb.16:
	scratch_load_dwordx2 v[0:1], off, off offset:304 ; 8-byte Folded Reload
	s_waitcnt vmcnt(0)
	v_lshl_add_u64 v[0:1], v[0:1], 3, s[22:23]
	global_load_dwordx2 v[0:1], v[0:1], off
	s_waitcnt vmcnt(0)
	scratch_store_dwordx2 off, v[0:1], off offset:64 ; 8-byte Folded Spill
.LBB7_17:
	s_or_b64 exec, exec, s[2:3]
	v_add_u32_e32 v0, 0x900, v8
	v_cmp_gt_i32_e64 s[4:5], s33, v0
                                        ; implicit-def: $vgpr0
	scratch_store_dwordx2 off, v[0:1], off offset:72 ; 8-byte Folded Spill
	s_mov_b64 s[2:3], exec
	v_writelane_b32 v127, s4, 16
	s_nop 1
	v_writelane_b32 v127, s5, 17
	s_and_b64 s[4:5], s[2:3], s[4:5]
	s_mov_b64 exec, s[4:5]
	s_cbranch_execz .LBB7_19
; %bb.18:
	v_add_co_u32_e32 v0, vcc, 0x4000, v4
	s_nop 1
	v_addc_co_u32_e32 v1, vcc, 0, v5, vcc
	global_load_dwordx2 v[0:1], v[0:1], off offset:2048
	s_waitcnt vmcnt(0)
	scratch_store_dwordx2 off, v[0:1], off offset:72 ; 8-byte Folded Spill
.LBB7_19:
	s_or_b64 exec, exec, s[2:3]
	v_add_u32_e32 v0, 0xa00, v8
	v_cmp_gt_i32_e64 s[4:5], s33, v0
                                        ; implicit-def: $vgpr0
	scratch_store_dwordx2 off, v[0:1], off offset:80 ; 8-byte Folded Spill
	s_mov_b64 s[2:3], exec
	v_writelane_b32 v127, s4, 18
	s_nop 1
	v_writelane_b32 v127, s5, 19
	s_and_b64 s[4:5], s[2:3], s[4:5]
	s_mov_b64 exec, s[4:5]
	s_cbranch_execz .LBB7_21
; %bb.20:
	v_add_co_u32_e32 v0, vcc, 0x5000, v4
	s_nop 1
	v_addc_co_u32_e32 v1, vcc, 0, v5, vcc
	global_load_dwordx2 v[0:1], v[0:1], off
	s_waitcnt vmcnt(0)
	scratch_store_dwordx2 off, v[0:1], off offset:80 ; 8-byte Folded Spill
.LBB7_21:
	s_or_b64 exec, exec, s[2:3]
	v_add_u32_e32 v0, 0xb00, v8
	v_cmp_gt_i32_e64 s[4:5], s33, v0
                                        ; implicit-def: $vgpr0
	scratch_store_dwordx2 off, v[0:1], off offset:88 ; 8-byte Folded Spill
	s_mov_b64 s[2:3], exec
	v_writelane_b32 v127, s4, 20
	s_nop 1
	v_writelane_b32 v127, s5, 21
	s_and_b64 s[4:5], s[2:3], s[4:5]
	s_mov_b64 exec, s[4:5]
	s_cbranch_execz .LBB7_23
; %bb.22:
	v_add_co_u32_e32 v0, vcc, 0x5000, v4
	s_nop 1
	v_addc_co_u32_e32 v1, vcc, 0, v5, vcc
	global_load_dwordx2 v[0:1], v[0:1], off offset:2048
	s_waitcnt vmcnt(0)
	scratch_store_dwordx2 off, v[0:1], off offset:88 ; 8-byte Folded Spill
.LBB7_23:
	s_or_b64 exec, exec, s[2:3]
	v_or_b32_e32 v0, 0xc00, v8
	v_ashrrev_i32_e32 v1, 31, v0
	v_cmp_gt_i32_e64 s[4:5], s33, v0
	scratch_store_dwordx2 off, v[0:1], off offset:312 ; 8-byte Folded Spill
                                        ; implicit-def: $vgpr0
	scratch_store_dwordx2 off, v[0:1], off offset:96 ; 8-byte Folded Spill
	s_mov_b64 s[2:3], exec
	v_writelane_b32 v127, s4, 22
	s_nop 1
	v_writelane_b32 v127, s5, 23
	s_and_b64 s[4:5], s[2:3], s[4:5]
	s_mov_b64 exec, s[4:5]
	s_cbranch_execz .LBB7_25
; %bb.24:
	scratch_load_dwordx2 v[0:1], off, off offset:312 ; 8-byte Folded Reload
	s_waitcnt vmcnt(0)
	v_lshl_add_u64 v[0:1], v[0:1], 3, s[22:23]
	global_load_dwordx2 v[0:1], v[0:1], off
	s_waitcnt vmcnt(0)
	scratch_store_dwordx2 off, v[0:1], off offset:96 ; 8-byte Folded Spill
.LBB7_25:
	s_or_b64 exec, exec, s[2:3]
	v_add_u32_e32 v0, 0xd00, v8
	v_cmp_gt_i32_e64 s[4:5], s33, v0
                                        ; implicit-def: $vgpr0
	scratch_store_dwordx2 off, v[0:1], off offset:104 ; 8-byte Folded Spill
	s_mov_b64 s[2:3], exec
	v_writelane_b32 v127, s4, 24
	s_nop 1
	v_writelane_b32 v127, s5, 25
	s_and_b64 s[4:5], s[2:3], s[4:5]
	s_mov_b64 exec, s[4:5]
	s_cbranch_execz .LBB7_27
; %bb.26:
	v_add_co_u32_e32 v0, vcc, 0x6000, v4
	s_nop 1
	v_addc_co_u32_e32 v1, vcc, 0, v5, vcc
	global_load_dwordx2 v[0:1], v[0:1], off offset:2048
	s_waitcnt vmcnt(0)
	scratch_store_dwordx2 off, v[0:1], off offset:104 ; 8-byte Folded Spill
.LBB7_27:
	s_or_b64 exec, exec, s[2:3]
	v_add_u32_e32 v0, 0xe00, v8
	v_cmp_gt_i32_e64 s[4:5], s33, v0
                                        ; implicit-def: $vgpr0
	scratch_store_dwordx2 off, v[0:1], off offset:112 ; 8-byte Folded Spill
	s_mov_b64 s[2:3], exec
	v_writelane_b32 v127, s4, 26
	s_nop 1
	v_writelane_b32 v127, s5, 27
	s_and_b64 s[4:5], s[2:3], s[4:5]
	s_mov_b64 exec, s[4:5]
	s_cbranch_execz .LBB7_29
; %bb.28:
	v_add_co_u32_e32 v0, vcc, 0x7000, v4
	s_nop 1
	v_addc_co_u32_e32 v1, vcc, 0, v5, vcc
	global_load_dwordx2 v[0:1], v[0:1], off
	s_waitcnt vmcnt(0)
	scratch_store_dwordx2 off, v[0:1], off offset:112 ; 8-byte Folded Spill
.LBB7_29:
	s_or_b64 exec, exec, s[2:3]
	v_add_u32_e32 v0, 0xf00, v8
	v_cmp_gt_i32_e64 s[4:5], s33, v0
                                        ; implicit-def: $vgpr0
	scratch_store_dwordx2 off, v[0:1], off offset:120 ; 8-byte Folded Spill
	s_mov_b64 s[2:3], exec
	v_writelane_b32 v127, s4, 28
	s_nop 1
	v_writelane_b32 v127, s5, 29
	s_and_b64 s[4:5], s[2:3], s[4:5]
	s_mov_b64 exec, s[4:5]
	s_cbranch_execz .LBB7_31
; %bb.30:
	v_add_co_u32_e32 v0, vcc, 0x7000, v4
	s_nop 1
	v_addc_co_u32_e32 v1, vcc, 0, v5, vcc
	global_load_dwordx2 v[0:1], v[0:1], off offset:2048
	s_waitcnt vmcnt(0)
	scratch_store_dwordx2 off, v[0:1], off offset:120 ; 8-byte Folded Spill
.LBB7_31:
	s_or_b64 exec, exec, s[2:3]
	v_or_b32_e32 v0, 0x1000, v8
	v_ashrrev_i32_e32 v1, 31, v0
	v_cmp_gt_i32_e64 s[4:5], s33, v0
	scratch_store_dwordx2 off, v[0:1], off offset:320 ; 8-byte Folded Spill
                                        ; implicit-def: $vgpr0
	scratch_store_dwordx2 off, v[0:1], off offset:128 ; 8-byte Folded Spill
	s_mov_b64 s[2:3], exec
	v_writelane_b32 v127, s4, 30
	s_nop 1
	v_writelane_b32 v127, s5, 31
	s_and_b64 s[4:5], s[2:3], s[4:5]
	s_mov_b64 exec, s[4:5]
	s_cbranch_execz .LBB7_33
; %bb.32:
	scratch_load_dwordx2 v[0:1], off, off offset:320 ; 8-byte Folded Reload
	s_waitcnt vmcnt(0)
	v_lshl_add_u64 v[0:1], v[0:1], 3, s[22:23]
	global_load_dwordx2 v[0:1], v[0:1], off
	s_waitcnt vmcnt(0)
	scratch_store_dwordx2 off, v[0:1], off offset:128 ; 8-byte Folded Spill
.LBB7_33:
	s_or_b64 exec, exec, s[2:3]
	v_add_u32_e32 v0, 0x1100, v8
	v_cmp_gt_i32_e64 s[4:5], s33, v0
                                        ; implicit-def: $vgpr0
	scratch_store_dwordx2 off, v[0:1], off offset:136 ; 8-byte Folded Spill
	s_mov_b64 s[2:3], exec
	v_writelane_b32 v127, s4, 32
	s_nop 1
	v_writelane_b32 v127, s5, 33
	s_and_b64 s[4:5], s[2:3], s[4:5]
	s_mov_b64 exec, s[4:5]
	s_cbranch_execz .LBB7_35
; %bb.34:
	v_add_co_u32_e32 v0, vcc, 0x8000, v4
	s_nop 1
	v_addc_co_u32_e32 v1, vcc, 0, v5, vcc
	global_load_dwordx2 v[0:1], v[0:1], off offset:2048
	s_waitcnt vmcnt(0)
	scratch_store_dwordx2 off, v[0:1], off offset:136 ; 8-byte Folded Spill
.LBB7_35:
	s_or_b64 exec, exec, s[2:3]
	v_add_u32_e32 v0, 0x1200, v8
	v_cmp_gt_i32_e64 s[4:5], s33, v0
                                        ; implicit-def: $vgpr0
	scratch_store_dwordx2 off, v[0:1], off offset:144 ; 8-byte Folded Spill
	s_mov_b64 s[2:3], exec
	v_writelane_b32 v127, s4, 34
	s_nop 1
	v_writelane_b32 v127, s5, 35
	s_and_b64 s[4:5], s[2:3], s[4:5]
	s_mov_b64 exec, s[4:5]
	s_cbranch_execz .LBB7_37
; %bb.36:
	v_add_co_u32_e32 v0, vcc, 0x9000, v4
	s_nop 1
	v_addc_co_u32_e32 v1, vcc, 0, v5, vcc
	global_load_dwordx2 v[0:1], v[0:1], off
	s_waitcnt vmcnt(0)
	scratch_store_dwordx2 off, v[0:1], off offset:144 ; 8-byte Folded Spill
.LBB7_37:
	s_or_b64 exec, exec, s[2:3]
	v_add_u32_e32 v0, 0x1300, v8
	v_cmp_gt_i32_e64 s[4:5], s33, v0
                                        ; implicit-def: $vgpr0
	scratch_store_dwordx2 off, v[0:1], off offset:152 ; 8-byte Folded Spill
	s_mov_b64 s[2:3], exec
	v_writelane_b32 v127, s4, 36
	s_nop 1
	v_writelane_b32 v127, s5, 37
	s_and_b64 s[4:5], s[2:3], s[4:5]
	s_mov_b64 exec, s[4:5]
	s_cbranch_execz .LBB7_39
; %bb.38:
	v_add_co_u32_e32 v0, vcc, 0x9000, v4
	s_nop 1
	v_addc_co_u32_e32 v1, vcc, 0, v5, vcc
	global_load_dwordx2 v[0:1], v[0:1], off offset:2048
	s_waitcnt vmcnt(0)
	scratch_store_dwordx2 off, v[0:1], off offset:152 ; 8-byte Folded Spill
.LBB7_39:
	s_or_b64 exec, exec, s[2:3]
	v_or_b32_e32 v0, 0x1400, v8
	v_ashrrev_i32_e32 v1, 31, v0
	v_cmp_gt_i32_e64 s[4:5], s33, v0
	scratch_store_dwordx2 off, v[0:1], off offset:328 ; 8-byte Folded Spill
                                        ; implicit-def: $vgpr0
	scratch_store_dwordx2 off, v[0:1], off offset:160 ; 8-byte Folded Spill
	s_mov_b64 s[2:3], exec
	v_writelane_b32 v127, s4, 38
	s_nop 1
	v_writelane_b32 v127, s5, 39
	s_and_b64 s[4:5], s[2:3], s[4:5]
	s_mov_b64 exec, s[4:5]
	s_cbranch_execz .LBB7_41
; %bb.40:
	scratch_load_dwordx2 v[0:1], off, off offset:328 ; 8-byte Folded Reload
	s_waitcnt vmcnt(0)
	v_lshl_add_u64 v[0:1], v[0:1], 3, s[22:23]
	global_load_dwordx2 v[0:1], v[0:1], off
	s_waitcnt vmcnt(0)
	scratch_store_dwordx2 off, v[0:1], off offset:160 ; 8-byte Folded Spill
.LBB7_41:
	s_or_b64 exec, exec, s[2:3]
	v_add_u32_e32 v0, 0x1500, v8
	v_cmp_gt_i32_e64 s[4:5], s33, v0
                                        ; implicit-def: $vgpr0
	scratch_store_dwordx2 off, v[0:1], off offset:168 ; 8-byte Folded Spill
	s_mov_b64 s[2:3], exec
	v_writelane_b32 v127, s4, 40
	s_nop 1
	v_writelane_b32 v127, s5, 41
	s_and_b64 s[4:5], s[2:3], s[4:5]
	s_mov_b64 exec, s[4:5]
	s_cbranch_execz .LBB7_43
; %bb.42:
	v_add_co_u32_e32 v0, vcc, 0xa000, v4
	s_nop 1
	v_addc_co_u32_e32 v1, vcc, 0, v5, vcc
	global_load_dwordx2 v[0:1], v[0:1], off offset:2048
	s_waitcnt vmcnt(0)
	scratch_store_dwordx2 off, v[0:1], off offset:168 ; 8-byte Folded Spill
.LBB7_43:
	s_or_b64 exec, exec, s[2:3]
	v_add_u32_e32 v0, 0x1600, v8
	v_cmp_gt_i32_e64 s[44:45], s33, v0
                                        ; implicit-def: $vgpr0
	scratch_store_dwordx2 off, v[0:1], off offset:176 ; 8-byte Folded Spill
	s_and_saveexec_b64 s[2:3], s[44:45]
	s_cbranch_execz .LBB7_45
; %bb.44:
	v_add_co_u32_e32 v0, vcc, 0xb000, v4
	s_nop 1
	v_addc_co_u32_e32 v1, vcc, 0, v5, vcc
	global_load_dwordx2 v[0:1], v[0:1], off
	s_waitcnt vmcnt(0)
	scratch_store_dwordx2 off, v[0:1], off offset:176 ; 8-byte Folded Spill
.LBB7_45:
	s_or_b64 exec, exec, s[2:3]
	v_add_u32_e32 v0, 0x1700, v8
	v_cmp_gt_i32_e64 s[46:47], s33, v0
                                        ; implicit-def: $vgpr0
	scratch_store_dwordx2 off, v[0:1], off offset:184 ; 8-byte Folded Spill
	s_and_saveexec_b64 s[2:3], s[46:47]
	s_cbranch_execz .LBB7_47
; %bb.46:
	v_add_co_u32_e32 v0, vcc, 0xb000, v4
	s_nop 1
	v_addc_co_u32_e32 v1, vcc, 0, v5, vcc
	global_load_dwordx2 v[0:1], v[0:1], off offset:2048
	s_waitcnt vmcnt(0)
	scratch_store_dwordx2 off, v[0:1], off offset:184 ; 8-byte Folded Spill
.LBB7_47:
	s_or_b64 exec, exec, s[2:3]
	v_or_b32_e32 v0, 0x1800, v8
	v_cmp_gt_i32_e64 s[48:49], s33, v0
	v_ashrrev_i32_e32 v1, 31, v0
	scratch_store_dwordx2 off, v[0:1], off offset:336 ; 8-byte Folded Spill
                                        ; implicit-def: $vgpr0
	scratch_store_dwordx2 off, v[0:1], off offset:192 ; 8-byte Folded Spill
	s_and_saveexec_b64 s[2:3], s[48:49]
	s_cbranch_execz .LBB7_49
; %bb.48:
	scratch_load_dwordx2 v[0:1], off, off offset:336 ; 8-byte Folded Reload
	s_waitcnt vmcnt(0)
	v_lshl_add_u64 v[0:1], v[0:1], 3, s[22:23]
	global_load_dwordx2 v[0:1], v[0:1], off
	s_waitcnt vmcnt(0)
	scratch_store_dwordx2 off, v[0:1], off offset:192 ; 8-byte Folded Spill
.LBB7_49:
	s_or_b64 exec, exec, s[2:3]
	v_add_u32_e32 v0, 0x1900, v8
	v_cmp_gt_i32_e64 s[50:51], s33, v0
                                        ; implicit-def: $vgpr0
	scratch_store_dwordx2 off, v[0:1], off offset:200 ; 8-byte Folded Spill
	s_and_saveexec_b64 s[2:3], s[50:51]
	s_cbranch_execz .LBB7_51
; %bb.50:
	v_add_co_u32_e32 v0, vcc, 0xc000, v4
	s_nop 1
	v_addc_co_u32_e32 v1, vcc, 0, v5, vcc
	global_load_dwordx2 v[0:1], v[0:1], off offset:2048
	s_waitcnt vmcnt(0)
	scratch_store_dwordx2 off, v[0:1], off offset:200 ; 8-byte Folded Spill
.LBB7_51:
	s_or_b64 exec, exec, s[2:3]
	v_add_u32_e32 v0, 0x1a00, v8
	v_cmp_gt_i32_e64 s[52:53], s33, v0
                                        ; implicit-def: $vgpr0
	scratch_store_dwordx2 off, v[0:1], off offset:208 ; 8-byte Folded Spill
	s_and_saveexec_b64 s[2:3], s[52:53]
	s_cbranch_execz .LBB7_53
; %bb.52:
	v_add_co_u32_e32 v0, vcc, 0xd000, v4
	s_nop 1
	v_addc_co_u32_e32 v1, vcc, 0, v5, vcc
	global_load_dwordx2 v[0:1], v[0:1], off
	s_waitcnt vmcnt(0)
	scratch_store_dwordx2 off, v[0:1], off offset:208 ; 8-byte Folded Spill
.LBB7_53:
	s_or_b64 exec, exec, s[2:3]
	v_add_u32_e32 v0, 0x1b00, v8
	v_cmp_gt_i32_e64 s[54:55], s33, v0
                                        ; implicit-def: $vgpr0
	scratch_store_dwordx2 off, v[0:1], off offset:216 ; 8-byte Folded Spill
	s_and_saveexec_b64 s[2:3], s[54:55]
	s_cbranch_execz .LBB7_55
; %bb.54:
	v_add_co_u32_e32 v0, vcc, 0xd000, v4
	s_nop 1
	v_addc_co_u32_e32 v1, vcc, 0, v5, vcc
	global_load_dwordx2 v[0:1], v[0:1], off offset:2048
	s_waitcnt vmcnt(0)
	scratch_store_dwordx2 off, v[0:1], off offset:216 ; 8-byte Folded Spill
.LBB7_55:
	s_or_b64 exec, exec, s[2:3]
	v_or_b32_e32 v0, 0x1c00, v8
	v_cmp_gt_i32_e64 s[56:57], s33, v0
	v_ashrrev_i32_e32 v1, 31, v0
	scratch_store_dwordx2 off, v[0:1], off offset:344 ; 8-byte Folded Spill
                                        ; implicit-def: $vgpr0
	scratch_store_dwordx2 off, v[0:1], off offset:224 ; 8-byte Folded Spill
	s_and_saveexec_b64 s[2:3], s[56:57]
	s_cbranch_execz .LBB7_57
; %bb.56:
	scratch_load_dwordx2 v[0:1], off, off offset:344 ; 8-byte Folded Reload
	s_waitcnt vmcnt(0)
	v_lshl_add_u64 v[0:1], v[0:1], 3, s[22:23]
	global_load_dwordx2 v[0:1], v[0:1], off
	s_waitcnt vmcnt(0)
	scratch_store_dwordx2 off, v[0:1], off offset:224 ; 8-byte Folded Spill
.LBB7_57:
	s_or_b64 exec, exec, s[2:3]
	v_add_u32_e32 v0, 0x1d00, v8
	v_cmp_gt_i32_e64 s[58:59], s33, v0
                                        ; implicit-def: $vgpr0
	scratch_store_dwordx2 off, v[0:1], off offset:232 ; 8-byte Folded Spill
	s_and_saveexec_b64 s[2:3], s[58:59]
	;; [unrolled: 62-line block ×3, first 2 shown]
	s_cbranch_execz .LBB7_67
; %bb.66:
	v_add_co_u32_e32 v0, vcc, 0x10000, v4
	s_nop 1
	v_addc_co_u32_e32 v1, vcc, 0, v5, vcc
	global_load_dwordx2 v[0:1], v[0:1], off offset:2048
	s_waitcnt vmcnt(0)
	scratch_store_dwordx2 off, v[0:1], off offset:264 ; 8-byte Folded Spill
.LBB7_67:
	s_or_b64 exec, exec, s[2:3]
	v_add_u32_e32 v0, 0x2200, v8
	v_cmp_gt_i32_e64 s[68:69], s33, v0
                                        ; implicit-def: $vgpr0
	scratch_store_dwordx2 off, v[0:1], off offset:272 ; 8-byte Folded Spill
	s_and_saveexec_b64 s[2:3], s[68:69]
	s_cbranch_execz .LBB7_69
; %bb.68:
	v_add_co_u32_e32 v0, vcc, 0x11000, v4
	s_nop 1
	v_addc_co_u32_e32 v1, vcc, 0, v5, vcc
	global_load_dwordx2 v[0:1], v[0:1], off
	s_waitcnt vmcnt(0)
	scratch_store_dwordx2 off, v[0:1], off offset:272 ; 8-byte Folded Spill
.LBB7_69:
	s_or_b64 exec, exec, s[2:3]
	v_add_u32_e32 v0, 0x2300, v8
	v_cmp_gt_i32_e64 s[70:71], s33, v0
                                        ; implicit-def: $vgpr0
	scratch_store_dwordx2 off, v[0:1], off offset:280 ; 8-byte Folded Spill
	s_and_saveexec_b64 s[2:3], s[70:71]
	s_cbranch_execz .LBB7_71
; %bb.70:
	v_add_co_u32_e32 v0, vcc, 0x11000, v4
	s_nop 1
	v_addc_co_u32_e32 v1, vcc, 0, v5, vcc
	global_load_dwordx2 v[0:1], v[0:1], off offset:2048
	s_waitcnt vmcnt(0)
	scratch_store_dwordx2 off, v[0:1], off offset:280 ; 8-byte Folded Spill
.LBB7_71:
	s_or_b64 exec, exec, s[2:3]
	v_or_b32_e32 v0, 0x2400, v8
	v_cmp_gt_i32_e64 s[72:73], s33, v0
	v_ashrrev_i32_e32 v1, 31, v0
	scratch_store_dwordx2 off, v[0:1], off offset:360 ; 8-byte Folded Spill
                                        ; implicit-def: $vgpr104
	s_and_saveexec_b64 s[2:3], s[72:73]
	s_cbranch_execz .LBB7_73
; %bb.72:
	scratch_load_dwordx2 v[0:1], off, off offset:360 ; 8-byte Folded Reload
	s_waitcnt vmcnt(0)
	v_lshl_add_u64 v[0:1], v[0:1], 3, s[22:23]
	global_load_dwordx2 v[104:105], v[0:1], off
.LBB7_73:
	s_or_b64 exec, exec, s[2:3]
	v_add_u32_e32 v0, 0x2500, v8
	v_cmp_gt_i32_e64 s[74:75], s33, v0
                                        ; implicit-def: $vgpr106
	s_and_saveexec_b64 s[2:3], s[74:75]
	s_cbranch_execz .LBB7_75
; %bb.74:
	v_add_co_u32_e32 v0, vcc, 0x12000, v4
	s_nop 1
	v_addc_co_u32_e32 v1, vcc, 0, v5, vcc
	global_load_dwordx2 v[106:107], v[0:1], off offset:2048
.LBB7_75:
	s_or_b64 exec, exec, s[2:3]
	v_add_u32_e32 v0, 0x2600, v8
	v_cmp_gt_i32_e64 s[76:77], s33, v0
                                        ; implicit-def: $vgpr108
	s_and_saveexec_b64 s[2:3], s[76:77]
	s_cbranch_execz .LBB7_77
; %bb.76:
	v_add_co_u32_e32 v0, vcc, 0x13000, v4
	s_nop 1
	v_addc_co_u32_e32 v1, vcc, 0, v5, vcc
	global_load_dwordx2 v[108:109], v[0:1], off
.LBB7_77:
	s_or_b64 exec, exec, s[2:3]
	v_add_u32_e32 v0, 0x2700, v8
	v_cmp_gt_i32_e64 s[78:79], s33, v0
                                        ; implicit-def: $vgpr110
	s_and_saveexec_b64 s[2:3], s[78:79]
	s_cbranch_execz .LBB7_79
; %bb.78:
	v_add_co_u32_e32 v0, vcc, 0x13000, v4
	s_nop 1
	v_addc_co_u32_e32 v1, vcc, 0, v5, vcc
	global_load_dwordx2 v[110:111], v[0:1], off offset:2048
.LBB7_79:
	s_or_b64 exec, exec, s[2:3]
	v_or_b32_e32 v0, 0x2800, v8
	v_cmp_gt_i32_e64 s[80:81], s33, v0
	v_ashrrev_i32_e32 v1, 31, v0
	scratch_store_dwordx2 off, v[0:1], off offset:368 ; 8-byte Folded Spill
                                        ; implicit-def: $vgpr112
	s_and_saveexec_b64 s[2:3], s[80:81]
	s_cbranch_execz .LBB7_81
; %bb.80:
	scratch_load_dwordx2 v[0:1], off, off offset:368 ; 8-byte Folded Reload
	s_waitcnt vmcnt(0)
	v_lshl_add_u64 v[0:1], v[0:1], 3, s[22:23]
	global_load_dwordx2 v[112:113], v[0:1], off
.LBB7_81:
	s_or_b64 exec, exec, s[2:3]
	v_add_u32_e32 v0, 0x2900, v8
	v_cmp_gt_i32_e64 s[82:83], s33, v0
                                        ; implicit-def: $vgpr114
	s_and_saveexec_b64 s[2:3], s[82:83]
	s_cbranch_execz .LBB7_83
; %bb.82:
	v_add_co_u32_e32 v0, vcc, 0x14000, v4
	s_nop 1
	v_addc_co_u32_e32 v1, vcc, 0, v5, vcc
	global_load_dwordx2 v[114:115], v[0:1], off offset:2048
.LBB7_83:
	s_or_b64 exec, exec, s[2:3]
	v_add_u32_e32 v0, 0x2a00, v8
	v_cmp_gt_i32_e64 s[84:85], s33, v0
                                        ; implicit-def: $vgpr116
	s_and_saveexec_b64 s[2:3], s[84:85]
	s_cbranch_execz .LBB7_85
; %bb.84:
	v_add_co_u32_e32 v0, vcc, 0x15000, v4
	s_nop 1
	v_addc_co_u32_e32 v1, vcc, 0, v5, vcc
	global_load_dwordx2 v[116:117], v[0:1], off
.LBB7_85:
	s_or_b64 exec, exec, s[2:3]
	v_add_u32_e32 v0, 0x2b00, v8
	v_cmp_gt_i32_e64 s[86:87], s33, v0
                                        ; implicit-def: $vgpr118
	s_and_saveexec_b64 s[2:3], s[86:87]
	s_cbranch_execz .LBB7_87
; %bb.86:
	v_add_co_u32_e32 v0, vcc, 0x15000, v4
	s_nop 1
	v_addc_co_u32_e32 v1, vcc, 0, v5, vcc
	global_load_dwordx2 v[118:119], v[0:1], off offset:2048
.LBB7_87:
	s_or_b64 exec, exec, s[2:3]
	v_or_b32_e32 v0, 0x2c00, v8
	v_cmp_gt_i32_e64 s[88:89], s33, v0
	v_ashrrev_i32_e32 v1, 31, v0
	scratch_store_dwordx2 off, v[0:1], off offset:376 ; 8-byte Folded Spill
                                        ; implicit-def: $vgpr120
	s_and_saveexec_b64 s[2:3], s[88:89]
	s_cbranch_execz .LBB7_89
; %bb.88:
	scratch_load_dwordx2 v[0:1], off, off offset:376 ; 8-byte Folded Reload
	s_waitcnt vmcnt(0)
	v_lshl_add_u64 v[0:1], v[0:1], 3, s[22:23]
	global_load_dwordx2 v[120:121], v[0:1], off
.LBB7_89:
	s_or_b64 exec, exec, s[2:3]
	v_add_u32_e32 v0, 0x2d00, v8
	v_cmp_gt_i32_e64 s[90:91], s33, v0
                                        ; implicit-def: $vgpr122
	s_and_saveexec_b64 s[2:3], s[90:91]
	s_cbranch_execz .LBB7_91
; %bb.90:
	v_add_co_u32_e32 v0, vcc, 0x16000, v4
	s_nop 1
	v_addc_co_u32_e32 v1, vcc, 0, v5, vcc
	global_load_dwordx2 v[122:123], v[0:1], off offset:2048
.LBB7_91:
	s_or_b64 exec, exec, s[2:3]
	v_add_u32_e32 v0, 0x2e00, v8
	v_cmp_gt_i32_e64 s[92:93], s33, v0
                                        ; implicit-def: $vgpr124
	s_and_saveexec_b64 s[2:3], s[92:93]
	s_cbranch_execz .LBB7_93
; %bb.92:
	v_add_co_u32_e32 v0, vcc, 0x17000, v4
	s_nop 1
	v_addc_co_u32_e32 v1, vcc, 0, v5, vcc
	global_load_dwordx2 v[124:125], v[0:1], off
.LBB7_93:
	s_or_b64 exec, exec, s[2:3]
	v_add_u32_e32 v0, 0x2f00, v8
	v_cmp_gt_i32_e64 s[94:95], s33, v0
                                        ; implicit-def: $vgpr6
	s_and_saveexec_b64 s[2:3], s[94:95]
	s_cbranch_execz .LBB7_95
; %bb.94:
	v_add_co_u32_e32 v0, vcc, 0x17000, v4
	s_nop 1
	v_addc_co_u32_e32 v1, vcc, 0, v5, vcc
	global_load_dwordx2 v[6:7], v[0:1], off offset:2048
.LBB7_95:
	s_or_b64 exec, exec, s[2:3]
	v_or_b32_e32 v0, 0x3000, v8
	v_cmp_gt_i32_e64 s[96:97], s33, v0
	v_ashrrev_i32_e32 v1, 31, v0
	scratch_store_dwordx2 off, v[0:1], off offset:384 ; 8-byte Folded Spill
                                        ; implicit-def: $vgpr12
	s_and_saveexec_b64 s[2:3], s[96:97]
	s_cbranch_execz .LBB7_97
; %bb.96:
	scratch_load_dwordx2 v[0:1], off, off offset:384 ; 8-byte Folded Reload
	s_waitcnt vmcnt(0)
	v_lshl_add_u64 v[0:1], v[0:1], 3, s[22:23]
	global_load_dwordx2 v[12:13], v[0:1], off
.LBB7_97:
	s_or_b64 exec, exec, s[2:3]
	v_add_u32_e32 v0, 0x3100, v8
	v_cmp_gt_i32_e64 s[98:99], s33, v0
                                        ; implicit-def: $vgpr16
	s_and_saveexec_b64 s[2:3], s[98:99]
	s_cbranch_execz .LBB7_99
; %bb.98:
	v_add_co_u32_e32 v0, vcc, 0x18000, v4
	s_nop 1
	v_addc_co_u32_e32 v1, vcc, 0, v5, vcc
	global_load_dwordx2 v[16:17], v[0:1], off offset:2048
.LBB7_99:
	s_or_b64 exec, exec, s[2:3]
	v_add_u32_e32 v0, 0x3200, v8
	v_cmp_gt_i32_e64 s[28:29], s33, v0
                                        ; implicit-def: $vgpr20
	s_and_saveexec_b64 s[2:3], s[28:29]
	s_cbranch_execz .LBB7_101
; %bb.100:
	v_add_co_u32_e32 v0, vcc, 0x19000, v4
	s_nop 1
	v_addc_co_u32_e32 v1, vcc, 0, v5, vcc
	global_load_dwordx2 v[20:21], v[0:1], off
.LBB7_101:
	s_or_b64 exec, exec, s[2:3]
	v_add_u32_e32 v0, 0x3300, v8
	v_cmp_gt_i32_e64 s[2:3], s33, v0
                                        ; implicit-def: $vgpr26
	s_and_saveexec_b64 s[4:5], s[2:3]
	s_cbranch_execz .LBB7_103
; %bb.102:
	v_add_co_u32_e32 v0, vcc, 0x19000, v4
	s_nop 1
	v_addc_co_u32_e32 v1, vcc, 0, v5, vcc
	global_load_dwordx2 v[26:27], v[0:1], off offset:2048
.LBB7_103:
	s_or_b64 exec, exec, s[4:5]
	v_or_b32_e32 v0, 0x3400, v8
	v_cmp_gt_i32_e64 s[4:5], s33, v0
	v_ashrrev_i32_e32 v1, 31, v0
	scratch_store_dwordx2 off, v[0:1], off offset:392 ; 8-byte Folded Spill
                                        ; implicit-def: $vgpr32
	s_and_saveexec_b64 s[6:7], s[4:5]
	s_cbranch_execz .LBB7_105
; %bb.104:
	scratch_load_dwordx2 v[0:1], off, off offset:392 ; 8-byte Folded Reload
	s_waitcnt vmcnt(0)
	v_lshl_add_u64 v[0:1], v[0:1], 3, s[22:23]
	global_load_dwordx2 v[32:33], v[0:1], off
.LBB7_105:
	s_or_b64 exec, exec, s[6:7]
	v_add_u32_e32 v0, 0x3500, v8
	v_cmp_gt_i32_e64 s[6:7], s33, v0
                                        ; implicit-def: $vgpr36
	s_and_saveexec_b64 s[8:9], s[6:7]
	s_cbranch_execz .LBB7_107
; %bb.106:
	v_add_co_u32_e32 v0, vcc, 0x1a000, v4
	s_nop 1
	v_addc_co_u32_e32 v1, vcc, 0, v5, vcc
	global_load_dwordx2 v[36:37], v[0:1], off offset:2048
.LBB7_107:
	s_or_b64 exec, exec, s[8:9]
	v_add_u32_e32 v0, 0x3600, v8
	v_cmp_gt_i32_e64 s[8:9], s33, v0
                                        ; implicit-def: $vgpr42
	s_and_saveexec_b64 s[10:11], s[8:9]
	s_cbranch_execz .LBB7_109
; %bb.108:
	v_add_co_u32_e32 v0, vcc, 0x1b000, v4
	s_nop 1
	v_addc_co_u32_e32 v1, vcc, 0, v5, vcc
	global_load_dwordx2 v[42:43], v[0:1], off
.LBB7_109:
	s_or_b64 exec, exec, s[10:11]
	v_add_u32_e32 v0, 0x3700, v8
	v_cmp_gt_i32_e64 s[10:11], s33, v0
                                        ; implicit-def: $vgpr46
	s_and_saveexec_b64 s[12:13], s[10:11]
	s_cbranch_execz .LBB7_111
; %bb.110:
	v_add_co_u32_e32 v0, vcc, 0x1b000, v4
	s_nop 1
	v_addc_co_u32_e32 v1, vcc, 0, v5, vcc
	global_load_dwordx2 v[46:47], v[0:1], off offset:2048
.LBB7_111:
	s_or_b64 exec, exec, s[12:13]
	v_or_b32_e32 v0, 0x3800, v8
	v_cmp_gt_i32_e64 s[12:13], s33, v0
	v_ashrrev_i32_e32 v1, 31, v0
	scratch_store_dwordx2 off, v[0:1], off offset:400 ; 8-byte Folded Spill
                                        ; implicit-def: $vgpr52
	s_and_saveexec_b64 s[14:15], s[12:13]
	s_cbranch_execz .LBB7_113
; %bb.112:
	scratch_load_dwordx2 v[0:1], off, off offset:400 ; 8-byte Folded Reload
	s_waitcnt vmcnt(0)
	v_lshl_add_u64 v[0:1], v[0:1], 3, s[22:23]
	global_load_dwordx2 v[52:53], v[0:1], off
.LBB7_113:
	s_or_b64 exec, exec, s[14:15]
	v_add_u32_e32 v0, 0x3900, v8
	v_cmp_gt_i32_e64 s[14:15], s33, v0
                                        ; implicit-def: $vgpr56
	s_and_saveexec_b64 s[16:17], s[14:15]
	s_cbranch_execz .LBB7_115
; %bb.114:
	v_add_co_u32_e32 v0, vcc, 0x1c000, v4
	s_nop 1
	v_addc_co_u32_e32 v1, vcc, 0, v5, vcc
	global_load_dwordx2 v[56:57], v[0:1], off offset:2048
.LBB7_115:
	s_or_b64 exec, exec, s[16:17]
	v_add_u32_e32 v0, 0x3a00, v8
	v_cmp_gt_i32_e64 s[16:17], s33, v0
                                        ; implicit-def: $vgpr62
	s_and_saveexec_b64 s[18:19], s[16:17]
	s_cbranch_execz .LBB7_117
; %bb.116:
	v_add_co_u32_e32 v0, vcc, 0x1d000, v4
	s_nop 1
	v_addc_co_u32_e32 v1, vcc, 0, v5, vcc
	global_load_dwordx2 v[62:63], v[0:1], off
.LBB7_117:
	s_or_b64 exec, exec, s[18:19]
	v_add_u32_e32 v0, 0x3b00, v8
	v_cmp_gt_i32_e64 s[18:19], s33, v0
                                        ; implicit-def: $vgpr68
	s_and_saveexec_b64 s[20:21], s[18:19]
	s_cbranch_execz .LBB7_119
; %bb.118:
	v_add_co_u32_e32 v0, vcc, 0x1d000, v4
	s_nop 1
	v_addc_co_u32_e32 v1, vcc, 0, v5, vcc
	global_load_dwordx2 v[68:69], v[0:1], off offset:2048
.LBB7_119:
	s_or_b64 exec, exec, s[20:21]
	v_or_b32_e32 v0, 0x3c00, v8
	v_cmp_gt_i32_e64 s[20:21], s33, v0
	v_ashrrev_i32_e32 v1, 31, v0
	scratch_store_dwordx2 off, v[0:1], off offset:408 ; 8-byte Folded Spill
                                        ; implicit-def: $vgpr74
	s_and_saveexec_b64 s[24:25], s[20:21]
	s_cbranch_execz .LBB7_121
; %bb.120:
	scratch_load_dwordx2 v[0:1], off, off offset:408 ; 8-byte Folded Reload
	s_waitcnt vmcnt(0)
	v_lshl_add_u64 v[0:1], v[0:1], 3, s[22:23]
	global_load_dwordx2 v[74:75], v[0:1], off
.LBB7_121:
	s_or_b64 exec, exec, s[24:25]
	v_add_u32_e32 v0, 0x3d00, v8
	v_cmp_gt_i32_e64 s[22:23], s33, v0
                                        ; implicit-def: $vgpr80
	s_and_saveexec_b64 s[24:25], s[22:23]
	s_cbranch_execz .LBB7_123
; %bb.122:
	v_add_co_u32_e32 v0, vcc, 0x1e000, v4
	s_nop 1
	v_addc_co_u32_e32 v1, vcc, 0, v5, vcc
	global_load_dwordx2 v[80:81], v[0:1], off offset:2048
.LBB7_123:
	s_or_b64 exec, exec, s[24:25]
	s_load_dwordx2 s[34:35], s[0:1], 0x10
	v_add_u32_e32 v0, 0x3e00, v8
	v_cmp_gt_i32_e64 s[24:25], s33, v0
                                        ; implicit-def: $vgpr0
	s_and_saveexec_b64 s[26:27], s[24:25]
	s_cbranch_execz .LBB7_125
; %bb.124:
	v_add_co_u32_e32 v0, vcc, 0x1f000, v4
	s_nop 1
	v_addc_co_u32_e32 v1, vcc, 0, v5, vcc
	global_load_dwordx2 v[0:1], v[0:1], off
.LBB7_125:
	s_or_b64 exec, exec, s[26:27]
	s_load_dwordx2 s[30:31], s[0:1], 0x0
	v_add_u32_e32 v2, 0x3f00, v8
	v_cmp_gt_i32_e64 s[26:27], s33, v2
                                        ; implicit-def: $vgpr2
	s_and_saveexec_b64 s[0:1], s[26:27]
	s_cbranch_execz .LBB7_127
; %bb.126:
	v_add_co_u32_e32 v2, vcc, 0x1f000, v4
	s_nop 1
	v_addc_co_u32_e32 v3, vcc, 0, v5, vcc
	global_load_dwordx2 v[2:3], v[2:3], off offset:2048
.LBB7_127:
	s_or_b64 exec, exec, s[0:1]
	s_waitcnt lgkmcnt(0)
	s_load_dwordx2 s[40:41], s[34:35], 0x12b8
	scratch_store_dwordx2 off, v[8:9], off offset:288 ; 8-byte Folded Spill
	v_mov_b32_e32 v4, 0
	s_mov_b64 s[36:37], 0
	v_mov_b32_e32 v5, 0
	v_mov_b32_e32 v126, 0
	;; [unrolled: 1-line block ×63, first 2 shown]
.LBB7_128:                              ; =>This Inner Loop Header: Depth=1
	scratch_load_dwordx2 v[98:99], off, off ; 8-byte Folded Reload
	s_add_u32 s0, s34, s36
	s_addc_u32 s1, s35, s37
	s_load_dwordx2 s[38:39], s[0:1], 0x0
	s_waitcnt lgkmcnt(0)
	v_mov_b64_e32 v[96:97], s[38:39]
	v_pk_add_f32 v[96:97], s[40:41], v[96:97] neg_lo:[0,1] neg_hi:[0,1]
	s_waitcnt vmcnt(0)
	v_cmp_ngt_f32_e32 vcc, s41, v99
	v_div_scale_f32 v98, s[42:43], v97, v97, v96
	v_cmp_gt_f32_e64 s[0:1], s39, v99
	v_rcp_f32_e32 v99, v98
	s_xor_b64 s[0:1], s[0:1], vcc
	v_div_scale_f32 v100, vcc, v96, v97, v96
	v_fma_f32 v101, -v98, v99, 1.0
	v_fmac_f32_e32 v99, v101, v99
	v_mul_f32_e32 v101, v100, v99
	v_fma_f32 v102, -v98, v101, v100
	v_fmac_f32_e32 v101, v102, v99
	v_fma_f32 v98, -v98, v101, v100
	v_div_fmas_f32 v98, v98, v99, v101
	v_div_fixup_f32 v96, v98, v97, v96
	s_xor_b64 s[42:43], s[0:1], -1
	s_mov_b64 s[0:1], exec
	scratch_load_dwordx2 v[98:99], off, off offset:288 ; 8-byte Folded Reload
	s_and_b64 s[42:43], s[0:1], s[42:43]
	s_mov_b64 exec, s[42:43]
	s_cbranch_execz .LBB7_132
; %bb.129:                              ;   in Loop: Header=BB7_128 Depth=1
	scratch_load_dwordx2 v[100:101], off, off ; 8-byte Folded Reload
	s_waitcnt vmcnt(0)
	v_subrev_f32_e32 v97, s39, v101
	v_fma_f32 v97, v96, v97, s38
	v_cmp_lt_f32_e32 vcc, v100, v97
	s_and_saveexec_b64 s[42:43], vcc
; %bb.130:                              ;   in Loop: Header=BB7_128 Depth=1
	v_cmp_eq_u32_e32 vcc, 0, v103
	s_nop 1
	v_cndmask_b32_e64 v103, 0, 1, vcc
; %bb.131:                              ;   in Loop: Header=BB7_128 Depth=1
	s_or_b64 exec, exec, s[42:43]
.LBB7_132:                              ;   in Loop: Header=BB7_128 Depth=1
	s_or_b64 exec, exec, s[0:1]
	scratch_load_dwordx2 v[100:101], off, off offset:8 ; 8-byte Folded Reload
	s_waitcnt vmcnt(0)
	v_subrev_f32_e32 v97, s39, v101
	v_cmp_gt_f32_e32 vcc, s39, v101
	v_cmp_ngt_f32_e64 s[0:1], s41, v101
	v_fma_f32 v97, v96, v97, s38
	s_xor_b64 s[0:1], vcc, s[0:1]
	v_cmp_lt_f32_e32 vcc, v100, v97
	scratch_load_dwordx2 v[100:101], off, off offset:16 ; 8-byte Folded Reload
	s_xor_b64 s[0:1], s[0:1], -1
	s_and_b64 vcc, s[0:1], vcc
	v_cmp_eq_u32_e64 s[0:1], 0, v95
	s_nop 1
	v_cndmask_b32_e64 v97, 0, 1, s[0:1]
	v_cndmask_b32_e32 v95, v95, v97, vcc
	s_waitcnt vmcnt(0)
	v_subrev_f32_e32 v97, s39, v101
	v_cmp_gt_f32_e32 vcc, s39, v101
	v_cmp_ngt_f32_e64 s[0:1], s41, v101
	v_fma_f32 v97, v96, v97, s38
	s_xor_b64 s[0:1], vcc, s[0:1]
	v_cmp_lt_f32_e32 vcc, v100, v97
	scratch_load_dwordx2 v[100:101], off, off offset:24 ; 8-byte Folded Reload
	s_xor_b64 s[0:1], s[0:1], -1
	s_and_b64 vcc, s[0:1], vcc
	v_cmp_eq_u32_e64 s[0:1], 0, v94
	s_nop 1
	v_cndmask_b32_e64 v97, 0, 1, s[0:1]
	v_cndmask_b32_e32 v94, v94, v97, vcc
	;; [unrolled: 14-line block ×34, first 2 shown]
	s_waitcnt vmcnt(0)
	v_cmp_gt_f32_e32 vcc, s39, v101
	v_cmp_ngt_f32_e64 s[0:1], s41, v101
	v_subrev_f32_e32 v97, s39, v101
	s_xor_b64 s[0:1], vcc, s[0:1]
	v_fma_f32 v97, v96, v97, s38
	s_xor_b64 s[0:1], s[0:1], -1
	v_cmp_lt_f32_e32 vcc, v100, v97
	s_and_b64 vcc, s[0:1], vcc
	v_cmp_eq_u32_e64 s[0:1], 0, v49
	s_nop 1
	v_cndmask_b32_e64 v97, 0, 1, s[0:1]
	v_cndmask_b32_e32 v49, v49, v97, vcc
	v_cmp_gt_f32_e32 vcc, s39, v105
	v_cmp_ngt_f32_e64 s[0:1], s41, v105
	v_subrev_f32_e32 v97, s39, v105
	s_xor_b64 s[0:1], vcc, s[0:1]
	v_fma_f32 v97, v96, v97, s38
	s_xor_b64 s[0:1], s[0:1], -1
	v_cmp_lt_f32_e32 vcc, v104, v97
	s_and_b64 vcc, s[0:1], vcc
	v_cmp_eq_u32_e64 s[0:1], 0, v48
	s_nop 1
	v_cndmask_b32_e64 v97, 0, 1, s[0:1]
	v_cndmask_b32_e32 v48, v48, v97, vcc
	v_cmp_gt_f32_e32 vcc, s39, v107
	v_cmp_ngt_f32_e64 s[0:1], s41, v107
	v_subrev_f32_e32 v97, s39, v107
	s_xor_b64 s[0:1], vcc, s[0:1]
	v_fma_f32 v97, v96, v97, s38
	s_xor_b64 s[0:1], s[0:1], -1
	v_cmp_lt_f32_e32 vcc, v106, v97
	s_and_b64 vcc, s[0:1], vcc
	v_cmp_eq_u32_e64 s[0:1], 0, v45
	s_nop 1
	v_cndmask_b32_e64 v97, 0, 1, s[0:1]
	v_cndmask_b32_e32 v45, v45, v97, vcc
	v_cmp_gt_f32_e32 vcc, s39, v109
	v_cmp_ngt_f32_e64 s[0:1], s41, v109
	v_subrev_f32_e32 v97, s39, v109
	s_xor_b64 s[0:1], vcc, s[0:1]
	v_fma_f32 v97, v96, v97, s38
	s_xor_b64 s[0:1], s[0:1], -1
	v_cmp_lt_f32_e32 vcc, v108, v97
	s_and_b64 vcc, s[0:1], vcc
	v_cmp_eq_u32_e64 s[0:1], 0, v44
	s_nop 1
	v_cndmask_b32_e64 v97, 0, 1, s[0:1]
	v_cndmask_b32_e32 v44, v44, v97, vcc
	v_cmp_gt_f32_e32 vcc, s39, v111
	v_cmp_ngt_f32_e64 s[0:1], s41, v111
	v_subrev_f32_e32 v97, s39, v111
	s_xor_b64 s[0:1], vcc, s[0:1]
	v_fma_f32 v97, v96, v97, s38
	s_xor_b64 s[0:1], s[0:1], -1
	v_cmp_lt_f32_e32 vcc, v110, v97
	s_and_b64 vcc, s[0:1], vcc
	v_cmp_eq_u32_e64 s[0:1], 0, v41
	s_nop 1
	v_cndmask_b32_e64 v97, 0, 1, s[0:1]
	v_cndmask_b32_e32 v41, v41, v97, vcc
	v_cmp_gt_f32_e32 vcc, s39, v113
	v_cmp_ngt_f32_e64 s[0:1], s41, v113
	v_subrev_f32_e32 v97, s39, v113
	s_xor_b64 s[0:1], vcc, s[0:1]
	v_fma_f32 v97, v96, v97, s38
	s_xor_b64 s[0:1], s[0:1], -1
	v_cmp_lt_f32_e32 vcc, v112, v97
	s_and_b64 vcc, s[0:1], vcc
	v_cmp_eq_u32_e64 s[0:1], 0, v40
	s_nop 1
	v_cndmask_b32_e64 v97, 0, 1, s[0:1]
	v_cndmask_b32_e32 v40, v40, v97, vcc
	v_cmp_gt_f32_e32 vcc, s39, v115
	v_cmp_ngt_f32_e64 s[0:1], s41, v115
	v_subrev_f32_e32 v97, s39, v115
	s_xor_b64 s[0:1], vcc, s[0:1]
	v_fma_f32 v97, v96, v97, s38
	s_xor_b64 s[0:1], s[0:1], -1
	v_cmp_lt_f32_e32 vcc, v114, v97
	s_and_b64 vcc, s[0:1], vcc
	v_cmp_eq_u32_e64 s[0:1], 0, v39
	s_nop 1
	v_cndmask_b32_e64 v97, 0, 1, s[0:1]
	v_cndmask_b32_e32 v39, v39, v97, vcc
	v_cmp_gt_f32_e32 vcc, s39, v117
	v_cmp_ngt_f32_e64 s[0:1], s41, v117
	v_subrev_f32_e32 v97, s39, v117
	s_xor_b64 s[0:1], vcc, s[0:1]
	v_fma_f32 v97, v96, v97, s38
	s_xor_b64 s[0:1], s[0:1], -1
	v_cmp_lt_f32_e32 vcc, v116, v97
	s_and_b64 vcc, s[0:1], vcc
	v_cmp_eq_u32_e64 s[0:1], 0, v38
	s_nop 1
	v_cndmask_b32_e64 v97, 0, 1, s[0:1]
	v_cndmask_b32_e32 v38, v38, v97, vcc
	v_cmp_gt_f32_e32 vcc, s39, v119
	v_cmp_ngt_f32_e64 s[0:1], s41, v119
	v_subrev_f32_e32 v97, s39, v119
	s_xor_b64 s[0:1], vcc, s[0:1]
	v_fma_f32 v97, v96, v97, s38
	s_xor_b64 s[0:1], s[0:1], -1
	v_cmp_lt_f32_e32 vcc, v118, v97
	s_and_b64 vcc, s[0:1], vcc
	v_cmp_eq_u32_e64 s[0:1], 0, v35
	s_nop 1
	v_cndmask_b32_e64 v97, 0, 1, s[0:1]
	v_cndmask_b32_e32 v35, v35, v97, vcc
	v_cmp_gt_f32_e32 vcc, s39, v121
	v_cmp_ngt_f32_e64 s[0:1], s41, v121
	v_subrev_f32_e32 v97, s39, v121
	s_xor_b64 s[0:1], vcc, s[0:1]
	v_fma_f32 v97, v96, v97, s38
	s_xor_b64 s[0:1], s[0:1], -1
	v_cmp_lt_f32_e32 vcc, v120, v97
	s_and_b64 vcc, s[0:1], vcc
	v_cmp_eq_u32_e64 s[0:1], 0, v34
	s_nop 1
	v_cndmask_b32_e64 v97, 0, 1, s[0:1]
	v_cndmask_b32_e32 v34, v34, v97, vcc
	v_cmp_gt_f32_e32 vcc, s39, v123
	v_cmp_ngt_f32_e64 s[0:1], s41, v123
	v_subrev_f32_e32 v97, s39, v123
	s_xor_b64 s[0:1], vcc, s[0:1]
	v_fma_f32 v97, v96, v97, s38
	s_xor_b64 s[0:1], s[0:1], -1
	v_cmp_lt_f32_e32 vcc, v122, v97
	s_and_b64 vcc, s[0:1], vcc
	v_cmp_eq_u32_e64 s[0:1], 0, v31
	s_nop 1
	v_cndmask_b32_e64 v97, 0, 1, s[0:1]
	v_cndmask_b32_e32 v31, v31, v97, vcc
	v_cmp_gt_f32_e32 vcc, s39, v125
	v_cmp_ngt_f32_e64 s[0:1], s41, v125
	v_subrev_f32_e32 v97, s39, v125
	s_xor_b64 s[0:1], vcc, s[0:1]
	v_fma_f32 v97, v96, v97, s38
	s_xor_b64 s[0:1], s[0:1], -1
	v_cmp_lt_f32_e32 vcc, v124, v97
	s_and_b64 vcc, s[0:1], vcc
	v_cmp_eq_u32_e64 s[0:1], 0, v30
	s_nop 1
	v_cndmask_b32_e64 v97, 0, 1, s[0:1]
	v_cndmask_b32_e32 v30, v30, v97, vcc
	v_cmp_gt_f32_e32 vcc, s39, v7
	v_cmp_ngt_f32_e64 s[0:1], s41, v7
	v_subrev_f32_e32 v97, s39, v7
	s_xor_b64 s[0:1], vcc, s[0:1]
	v_fma_f32 v97, v96, v97, s38
	s_xor_b64 s[0:1], s[0:1], -1
	v_cmp_lt_f32_e32 vcc, v6, v97
	s_and_b64 vcc, s[0:1], vcc
	v_cmp_eq_u32_e64 s[0:1], 0, v29
	s_nop 1
	v_cndmask_b32_e64 v97, 0, 1, s[0:1]
	v_cndmask_b32_e32 v29, v29, v97, vcc
	v_cmp_gt_f32_e32 vcc, s39, v13
	v_cmp_ngt_f32_e64 s[0:1], s41, v13
	v_subrev_f32_e32 v97, s39, v13
	s_xor_b64 s[0:1], vcc, s[0:1]
	v_fma_f32 v97, v96, v97, s38
	s_xor_b64 s[0:1], s[0:1], -1
	v_cmp_lt_f32_e32 vcc, v12, v97
	s_and_b64 vcc, s[0:1], vcc
	v_cmp_eq_u32_e64 s[0:1], 0, v28
	s_nop 1
	v_cndmask_b32_e64 v97, 0, 1, s[0:1]
	v_cndmask_b32_e32 v28, v28, v97, vcc
	v_cmp_gt_f32_e32 vcc, s39, v17
	v_cmp_ngt_f32_e64 s[0:1], s41, v17
	v_subrev_f32_e32 v97, s39, v17
	s_xor_b64 s[0:1], vcc, s[0:1]
	v_fma_f32 v97, v96, v97, s38
	s_xor_b64 s[0:1], s[0:1], -1
	v_cmp_lt_f32_e32 vcc, v16, v97
	s_and_b64 vcc, s[0:1], vcc
	v_cmp_eq_u32_e64 s[0:1], 0, v25
	s_nop 1
	v_cndmask_b32_e64 v97, 0, 1, s[0:1]
	v_cndmask_b32_e32 v25, v25, v97, vcc
	v_cmp_gt_f32_e32 vcc, s39, v21
	v_cmp_ngt_f32_e64 s[0:1], s41, v21
	v_subrev_f32_e32 v97, s39, v21
	s_xor_b64 s[0:1], vcc, s[0:1]
	v_fma_f32 v97, v96, v97, s38
	s_xor_b64 s[0:1], s[0:1], -1
	v_cmp_lt_f32_e32 vcc, v20, v97
	s_and_b64 vcc, s[0:1], vcc
	v_cmp_eq_u32_e64 s[0:1], 0, v24
	s_nop 1
	v_cndmask_b32_e64 v97, 0, 1, s[0:1]
	v_cndmask_b32_e32 v24, v24, v97, vcc
	v_cmp_gt_f32_e32 vcc, s39, v27
	v_cmp_ngt_f32_e64 s[0:1], s41, v27
	v_subrev_f32_e32 v97, s39, v27
	s_xor_b64 s[0:1], vcc, s[0:1]
	v_fma_f32 v97, v96, v97, s38
	s_xor_b64 s[0:1], s[0:1], -1
	v_cmp_lt_f32_e32 vcc, v26, v97
	s_and_b64 vcc, s[0:1], vcc
	v_cmp_eq_u32_e64 s[0:1], 0, v23
	s_nop 1
	v_cndmask_b32_e64 v97, 0, 1, s[0:1]
	v_cndmask_b32_e32 v23, v23, v97, vcc
	v_cmp_gt_f32_e32 vcc, s39, v33
	v_cmp_ngt_f32_e64 s[0:1], s41, v33
	v_subrev_f32_e32 v97, s39, v33
	s_xor_b64 s[0:1], vcc, s[0:1]
	v_fma_f32 v97, v96, v97, s38
	s_xor_b64 s[0:1], s[0:1], -1
	v_cmp_lt_f32_e32 vcc, v32, v97
	s_and_b64 vcc, s[0:1], vcc
	v_cmp_eq_u32_e64 s[0:1], 0, v22
	s_nop 1
	v_cndmask_b32_e64 v97, 0, 1, s[0:1]
	v_cndmask_b32_e32 v22, v22, v97, vcc
	v_cmp_gt_f32_e32 vcc, s39, v37
	v_cmp_ngt_f32_e64 s[0:1], s41, v37
	v_subrev_f32_e32 v97, s39, v37
	s_xor_b64 s[0:1], vcc, s[0:1]
	v_fma_f32 v97, v96, v97, s38
	s_xor_b64 s[0:1], s[0:1], -1
	v_cmp_lt_f32_e32 vcc, v36, v97
	s_and_b64 vcc, s[0:1], vcc
	v_cmp_eq_u32_e64 s[0:1], 0, v19
	s_nop 1
	v_cndmask_b32_e64 v97, 0, 1, s[0:1]
	v_cndmask_b32_e32 v19, v19, v97, vcc
	v_cmp_gt_f32_e32 vcc, s39, v43
	v_cmp_ngt_f32_e64 s[0:1], s41, v43
	v_subrev_f32_e32 v97, s39, v43
	s_xor_b64 s[0:1], vcc, s[0:1]
	v_fma_f32 v97, v96, v97, s38
	s_xor_b64 s[0:1], s[0:1], -1
	v_cmp_lt_f32_e32 vcc, v42, v97
	s_and_b64 vcc, s[0:1], vcc
	v_cmp_eq_u32_e64 s[0:1], 0, v18
	s_nop 1
	v_cndmask_b32_e64 v97, 0, 1, s[0:1]
	v_cndmask_b32_e32 v18, v18, v97, vcc
	v_cmp_gt_f32_e32 vcc, s39, v47
	v_cmp_ngt_f32_e64 s[0:1], s41, v47
	v_subrev_f32_e32 v97, s39, v47
	s_xor_b64 s[0:1], vcc, s[0:1]
	v_fma_f32 v97, v96, v97, s38
	s_xor_b64 s[0:1], s[0:1], -1
	v_cmp_lt_f32_e32 vcc, v46, v97
	s_and_b64 vcc, s[0:1], vcc
	v_cmp_eq_u32_e64 s[0:1], 0, v15
	s_nop 1
	v_cndmask_b32_e64 v97, 0, 1, s[0:1]
	v_cndmask_b32_e32 v15, v15, v97, vcc
	v_cmp_gt_f32_e32 vcc, s39, v53
	v_cmp_ngt_f32_e64 s[0:1], s41, v53
	v_subrev_f32_e32 v97, s39, v53
	s_xor_b64 s[0:1], vcc, s[0:1]
	v_fma_f32 v97, v96, v97, s38
	s_xor_b64 s[0:1], s[0:1], -1
	v_cmp_lt_f32_e32 vcc, v52, v97
	s_and_b64 vcc, s[0:1], vcc
	v_cmp_eq_u32_e64 s[0:1], 0, v14
	s_nop 1
	v_cndmask_b32_e64 v97, 0, 1, s[0:1]
	v_cndmask_b32_e32 v14, v14, v97, vcc
	v_cmp_gt_f32_e32 vcc, s39, v57
	v_cmp_ngt_f32_e64 s[0:1], s41, v57
	v_subrev_f32_e32 v97, s39, v57
	s_xor_b64 s[0:1], vcc, s[0:1]
	v_fma_f32 v97, v96, v97, s38
	s_xor_b64 s[0:1], s[0:1], -1
	v_cmp_lt_f32_e32 vcc, v56, v97
	s_and_b64 vcc, s[0:1], vcc
	v_cmp_eq_u32_e64 s[0:1], 0, v11
	s_nop 1
	v_cndmask_b32_e64 v97, 0, 1, s[0:1]
	v_cndmask_b32_e32 v11, v11, v97, vcc
	v_cmp_gt_f32_e32 vcc, s39, v63
	v_cmp_ngt_f32_e64 s[0:1], s41, v63
	v_subrev_f32_e32 v97, s39, v63
	s_xor_b64 s[0:1], vcc, s[0:1]
	v_fma_f32 v97, v96, v97, s38
	s_xor_b64 s[0:1], s[0:1], -1
	v_cmp_lt_f32_e32 vcc, v62, v97
	s_and_b64 vcc, s[0:1], vcc
	v_cmp_eq_u32_e64 s[0:1], 0, v10
	s_nop 1
	v_cndmask_b32_e64 v97, 0, 1, s[0:1]
	v_cndmask_b32_e32 v10, v10, v97, vcc
	v_cmp_gt_f32_e32 vcc, s39, v69
	v_cmp_ngt_f32_e64 s[0:1], s41, v69
	v_subrev_f32_e32 v97, s39, v69
	s_xor_b64 s[0:1], vcc, s[0:1]
	v_fma_f32 v97, v96, v97, s38
	s_xor_b64 s[0:1], s[0:1], -1
	v_cmp_lt_f32_e32 vcc, v68, v97
	s_and_b64 vcc, s[0:1], vcc
	v_cmp_eq_u32_e64 s[0:1], 0, v9
	s_nop 1
	v_cndmask_b32_e64 v97, 0, 1, s[0:1]
	v_cndmask_b32_e32 v9, v9, v97, vcc
	v_cmp_gt_f32_e32 vcc, s39, v75
	v_cmp_ngt_f32_e64 s[0:1], s41, v75
	v_subrev_f32_e32 v97, s39, v75
	s_xor_b64 s[0:1], vcc, s[0:1]
	v_fma_f32 v97, v96, v97, s38
	s_xor_b64 s[0:1], s[0:1], -1
	v_cmp_lt_f32_e32 vcc, v74, v97
	s_and_b64 vcc, s[0:1], vcc
	v_cmp_eq_u32_e64 s[0:1], 0, v8
	s_nop 1
	v_cndmask_b32_e64 v97, 0, 1, s[0:1]
	v_cndmask_b32_e32 v8, v8, v97, vcc
	v_cmp_gt_f32_e32 vcc, s39, v81
	v_cmp_ngt_f32_e64 s[0:1], s41, v81
	v_subrev_f32_e32 v97, s39, v81
	s_xor_b64 s[0:1], vcc, s[0:1]
	v_fma_f32 v97, v96, v97, s38
	s_xor_b64 s[0:1], s[0:1], -1
	v_cmp_lt_f32_e32 vcc, v80, v97
	s_and_b64 vcc, s[0:1], vcc
	v_cmp_eq_u32_e64 s[0:1], 0, v126
	s_nop 1
	v_cndmask_b32_e64 v97, 0, 1, s[0:1]
	v_cndmask_b32_e32 v126, v126, v97, vcc
	v_cmp_gt_f32_e32 vcc, s39, v1
	v_cmp_ngt_f32_e64 s[0:1], s41, v1
	v_subrev_f32_e32 v97, s39, v1
	s_xor_b64 s[0:1], vcc, s[0:1]
	v_fma_f32 v97, v96, v97, s38
	s_xor_b64 s[0:1], s[0:1], -1
	v_cmp_lt_f32_e32 vcc, v0, v97
	s_and_b64 vcc, s[0:1], vcc
	v_cmp_eq_u32_e64 s[0:1], 0, v5
	s_nop 1
	v_cndmask_b32_e64 v97, 0, 1, s[0:1]
	v_cndmask_b32_e32 v5, v5, v97, vcc
	v_cmp_gt_f32_e32 vcc, s39, v3
	v_cmp_ngt_f32_e64 s[0:1], s41, v3
	v_subrev_f32_e32 v97, s39, v3
	s_xor_b64 s[0:1], vcc, s[0:1]
	v_fma_f32 v96, v96, v97, s38
	s_xor_b64 s[0:1], s[0:1], -1
	v_cmp_lt_f32_e32 vcc, v2, v96
	s_and_b64 vcc, s[0:1], vcc
	v_cmp_eq_u32_e64 s[0:1], 0, v4
	s_add_u32 s36, s36, 8
	s_addc_u32 s37, s37, 0
	v_cndmask_b32_e64 v96, 0, 1, s[0:1]
	v_cndmask_b32_e32 v4, v4, v96, vcc
	s_cmpk_lg_i32 s36, 0x12c0
	s_cbranch_scc0 .LBB7_134
; %bb.133:                              ;   in Loop: Header=BB7_128 Depth=1
	s_mov_b64 s[40:41], s[38:39]
	s_branch .LBB7_128
.LBB7_134:
	v_lshl_add_u64 v[0:1], v[98:99], 2, s[30:31]
	global_store_dword v[0:1], v103, off
	s_mov_b64 s[0:1], exec
	v_readlane_b32 s34, v127, 0
	v_readlane_b32 s35, v127, 1
	s_and_b64 s[34:35], s[0:1], s[34:35]
	s_mov_b64 exec, s[34:35]
	s_cbranch_execz .LBB7_136
; %bb.135:
	global_store_dword v[0:1], v95, off offset:1024
.LBB7_136:
	s_or_b64 exec, exec, s[0:1]
	s_mov_b64 s[0:1], exec
	v_readlane_b32 s34, v127, 2
	v_readlane_b32 s35, v127, 3
	s_and_b64 s[34:35], s[0:1], s[34:35]
	s_mov_b64 exec, s[34:35]
	s_cbranch_execz .LBB7_138
; %bb.137:
	global_store_dword v[0:1], v94, off offset:2048
.LBB7_138:
	s_or_b64 exec, exec, s[0:1]
	;; [unrolled: 10-line block ×3, first 2 shown]
	s_mov_b64 s[0:1], exec
	v_readlane_b32 s34, v127, 6
	v_readlane_b32 s35, v127, 7
	s_and_b64 s[34:35], s[0:1], s[34:35]
	s_mov_b64 exec, s[34:35]
	s_cbranch_execz .LBB7_142
; %bb.141:
	scratch_load_dwordx2 v[2:3], off, off offset:296 ; 8-byte Folded Reload
	s_waitcnt vmcnt(0)
	v_lshl_add_u64 v[2:3], v[2:3], 2, s[30:31]
	global_store_dword v[2:3], v92, off
.LBB7_142:
	s_or_b64 exec, exec, s[0:1]
	s_mov_b64 s[0:1], exec
	v_readlane_b32 s34, v127, 8
	v_readlane_b32 s35, v127, 9
	s_and_b64 s[34:35], s[0:1], s[34:35]
	s_mov_b64 exec, s[34:35]
	s_cbranch_execz .LBB7_144
; %bb.143:
	v_add_co_u32_e32 v2, vcc, 0x1000, v0
	s_nop 1
	v_addc_co_u32_e32 v3, vcc, 0, v1, vcc
	global_store_dword v[2:3], v91, off offset:1024
.LBB7_144:
	s_or_b64 exec, exec, s[0:1]
	s_mov_b64 s[0:1], exec
	v_readlane_b32 s34, v127, 10
	v_readlane_b32 s35, v127, 11
	s_and_b64 s[34:35], s[0:1], s[34:35]
	s_mov_b64 exec, s[34:35]
	s_cbranch_execz .LBB7_146
; %bb.145:
	v_add_co_u32_e32 v2, vcc, 0x1000, v0
	s_nop 1
	v_addc_co_u32_e32 v3, vcc, 0, v1, vcc
	global_store_dword v[2:3], v90, off offset:2048
.LBB7_146:
	s_or_b64 exec, exec, s[0:1]
	s_mov_b64 s[0:1], exec
	v_readlane_b32 s34, v127, 12
	v_readlane_b32 s35, v127, 13
	s_and_b64 s[34:35], s[0:1], s[34:35]
	s_mov_b64 exec, s[34:35]
	s_cbranch_execz .LBB7_148
; %bb.147:
	v_add_co_u32_e32 v2, vcc, 0x1000, v0
	s_nop 1
	v_addc_co_u32_e32 v3, vcc, 0, v1, vcc
	global_store_dword v[2:3], v89, off offset:3072
.LBB7_148:
	s_or_b64 exec, exec, s[0:1]
	s_mov_b64 s[0:1], exec
	v_readlane_b32 s34, v127, 14
	v_readlane_b32 s35, v127, 15
	s_and_b64 s[34:35], s[0:1], s[34:35]
	s_mov_b64 exec, s[34:35]
	s_cbranch_execz .LBB7_150
; %bb.149:
	scratch_load_dwordx2 v[2:3], off, off offset:304 ; 8-byte Folded Reload
	s_waitcnt vmcnt(0)
	v_lshl_add_u64 v[2:3], v[2:3], 2, s[30:31]
	global_store_dword v[2:3], v88, off
.LBB7_150:
	s_or_b64 exec, exec, s[0:1]
	s_mov_b64 s[0:1], exec
	v_readlane_b32 s34, v127, 16
	v_readlane_b32 s35, v127, 17
	s_and_b64 s[34:35], s[0:1], s[34:35]
	s_mov_b64 exec, s[34:35]
	s_cbranch_execz .LBB7_152
; %bb.151:
	v_add_co_u32_e32 v2, vcc, 0x2000, v0
	s_nop 1
	v_addc_co_u32_e32 v3, vcc, 0, v1, vcc
	global_store_dword v[2:3], v87, off offset:1024
.LBB7_152:
	s_or_b64 exec, exec, s[0:1]
	s_mov_b64 s[0:1], exec
	v_readlane_b32 s34, v127, 18
	v_readlane_b32 s35, v127, 19
	s_and_b64 s[34:35], s[0:1], s[34:35]
	s_mov_b64 exec, s[34:35]
	s_cbranch_execz .LBB7_154
; %bb.153:
	v_add_co_u32_e32 v2, vcc, 0x2000, v0
	s_nop 1
	v_addc_co_u32_e32 v3, vcc, 0, v1, vcc
	global_store_dword v[2:3], v86, off offset:2048
.LBB7_154:
	s_or_b64 exec, exec, s[0:1]
	s_mov_b64 s[0:1], exec
	v_readlane_b32 s34, v127, 20
	v_readlane_b32 s35, v127, 21
	s_and_b64 s[34:35], s[0:1], s[34:35]
	s_mov_b64 exec, s[34:35]
	s_cbranch_execz .LBB7_156
; %bb.155:
	v_add_co_u32_e32 v2, vcc, 0x2000, v0
	s_nop 1
	v_addc_co_u32_e32 v3, vcc, 0, v1, vcc
	global_store_dword v[2:3], v85, off offset:3072
.LBB7_156:
	s_or_b64 exec, exec, s[0:1]
	;; [unrolled: 52-line block ×4, first 2 shown]
	s_mov_b64 s[0:1], exec
	v_readlane_b32 s34, v127, 38
	v_readlane_b32 s35, v127, 39
	s_and_b64 s[34:35], s[0:1], s[34:35]
	s_mov_b64 exec, s[34:35]
	s_cbranch_execz .LBB7_174
; %bb.173:
	scratch_load_dwordx2 v[2:3], off, off offset:328 ; 8-byte Folded Reload
	s_waitcnt vmcnt(0)
	v_lshl_add_u64 v[2:3], v[2:3], 2, s[30:31]
	global_store_dword v[2:3], v72, off
.LBB7_174:
	s_or_b64 exec, exec, s[0:1]
	s_mov_b64 s[0:1], exec
	v_readlane_b32 s34, v127, 40
	v_readlane_b32 s35, v127, 41
	s_and_b64 s[34:35], s[0:1], s[34:35]
	s_mov_b64 exec, s[34:35]
	s_cbranch_execnz .LBB7_219
; %bb.175:
	s_or_b64 exec, exec, s[0:1]
	s_and_saveexec_b64 s[0:1], s[44:45]
	s_cbranch_execnz .LBB7_220
.LBB7_176:
	s_or_b64 exec, exec, s[0:1]
	s_and_saveexec_b64 s[0:1], s[46:47]
	s_cbranch_execnz .LBB7_221
.LBB7_177:
	s_or_b64 exec, exec, s[0:1]
	s_and_saveexec_b64 s[0:1], s[48:49]
	s_cbranch_execnz .LBB7_222
.LBB7_178:
	s_or_b64 exec, exec, s[0:1]
	s_and_saveexec_b64 s[0:1], s[50:51]
	s_cbranch_execnz .LBB7_223
.LBB7_179:
	s_or_b64 exec, exec, s[0:1]
	s_and_saveexec_b64 s[0:1], s[52:53]
	s_cbranch_execnz .LBB7_224
.LBB7_180:
	s_or_b64 exec, exec, s[0:1]
	s_and_saveexec_b64 s[0:1], s[54:55]
	s_cbranch_execnz .LBB7_225
.LBB7_181:
	s_or_b64 exec, exec, s[0:1]
	s_and_saveexec_b64 s[0:1], s[56:57]
	s_cbranch_execnz .LBB7_226
.LBB7_182:
	s_or_b64 exec, exec, s[0:1]
	s_and_saveexec_b64 s[0:1], s[58:59]
	s_cbranch_execnz .LBB7_227
.LBB7_183:
	s_or_b64 exec, exec, s[0:1]
	s_and_saveexec_b64 s[0:1], s[60:61]
	s_cbranch_execnz .LBB7_228
.LBB7_184:
	s_or_b64 exec, exec, s[0:1]
	s_and_saveexec_b64 s[0:1], s[62:63]
	s_cbranch_execnz .LBB7_229
.LBB7_185:
	s_or_b64 exec, exec, s[0:1]
	s_and_saveexec_b64 s[0:1], s[64:65]
	s_cbranch_execnz .LBB7_230
.LBB7_186:
	s_or_b64 exec, exec, s[0:1]
	s_and_saveexec_b64 s[0:1], s[66:67]
	s_cbranch_execnz .LBB7_231
.LBB7_187:
	s_or_b64 exec, exec, s[0:1]
	s_and_saveexec_b64 s[0:1], s[68:69]
	s_cbranch_execnz .LBB7_232
.LBB7_188:
	s_or_b64 exec, exec, s[0:1]
	s_and_saveexec_b64 s[0:1], s[70:71]
	s_cbranch_execnz .LBB7_233
.LBB7_189:
	s_or_b64 exec, exec, s[0:1]
	s_and_saveexec_b64 s[0:1], s[72:73]
	s_cbranch_execnz .LBB7_234
.LBB7_190:
	s_or_b64 exec, exec, s[0:1]
	s_and_saveexec_b64 s[0:1], s[74:75]
	s_cbranch_execnz .LBB7_235
.LBB7_191:
	s_or_b64 exec, exec, s[0:1]
	s_and_saveexec_b64 s[0:1], s[76:77]
	s_cbranch_execnz .LBB7_236
.LBB7_192:
	s_or_b64 exec, exec, s[0:1]
	s_and_saveexec_b64 s[0:1], s[78:79]
	s_cbranch_execnz .LBB7_237
.LBB7_193:
	s_or_b64 exec, exec, s[0:1]
	s_and_saveexec_b64 s[0:1], s[80:81]
	s_cbranch_execnz .LBB7_238
.LBB7_194:
	s_or_b64 exec, exec, s[0:1]
	s_and_saveexec_b64 s[0:1], s[82:83]
	s_cbranch_execnz .LBB7_239
.LBB7_195:
	s_or_b64 exec, exec, s[0:1]
	s_and_saveexec_b64 s[0:1], s[84:85]
	s_cbranch_execnz .LBB7_240
.LBB7_196:
	s_or_b64 exec, exec, s[0:1]
	s_and_saveexec_b64 s[0:1], s[86:87]
	s_cbranch_execnz .LBB7_241
.LBB7_197:
	s_or_b64 exec, exec, s[0:1]
	s_and_saveexec_b64 s[0:1], s[88:89]
	s_cbranch_execnz .LBB7_242
.LBB7_198:
	s_or_b64 exec, exec, s[0:1]
	s_and_saveexec_b64 s[0:1], s[90:91]
	s_cbranch_execnz .LBB7_243
.LBB7_199:
	s_or_b64 exec, exec, s[0:1]
	s_and_saveexec_b64 s[0:1], s[92:93]
	s_cbranch_execnz .LBB7_244
.LBB7_200:
	s_or_b64 exec, exec, s[0:1]
	s_and_saveexec_b64 s[0:1], s[94:95]
	s_cbranch_execnz .LBB7_245
.LBB7_201:
	s_or_b64 exec, exec, s[0:1]
	s_and_saveexec_b64 s[0:1], s[96:97]
	s_cbranch_execnz .LBB7_246
.LBB7_202:
	s_or_b64 exec, exec, s[0:1]
	s_and_saveexec_b64 s[0:1], s[98:99]
	s_cbranch_execnz .LBB7_247
.LBB7_203:
	s_or_b64 exec, exec, s[0:1]
	s_and_saveexec_b64 s[0:1], s[28:29]
	s_cbranch_execnz .LBB7_248
.LBB7_204:
	s_or_b64 exec, exec, s[0:1]
	s_and_saveexec_b64 s[0:1], s[2:3]
	s_cbranch_execnz .LBB7_249
.LBB7_205:
	s_or_b64 exec, exec, s[0:1]
	s_and_saveexec_b64 s[0:1], s[4:5]
	s_cbranch_execnz .LBB7_250
.LBB7_206:
	s_or_b64 exec, exec, s[0:1]
	s_and_saveexec_b64 s[0:1], s[6:7]
	s_cbranch_execnz .LBB7_251
.LBB7_207:
	s_or_b64 exec, exec, s[0:1]
	s_and_saveexec_b64 s[0:1], s[8:9]
	s_cbranch_execnz .LBB7_252
.LBB7_208:
	s_or_b64 exec, exec, s[0:1]
	s_and_saveexec_b64 s[0:1], s[10:11]
	s_cbranch_execnz .LBB7_253
.LBB7_209:
	s_or_b64 exec, exec, s[0:1]
	s_and_saveexec_b64 s[0:1], s[12:13]
	s_cbranch_execnz .LBB7_254
.LBB7_210:
	s_or_b64 exec, exec, s[0:1]
	s_and_saveexec_b64 s[0:1], s[14:15]
	s_cbranch_execnz .LBB7_255
.LBB7_211:
	s_or_b64 exec, exec, s[0:1]
	s_and_saveexec_b64 s[0:1], s[16:17]
	s_cbranch_execnz .LBB7_256
.LBB7_212:
	s_or_b64 exec, exec, s[0:1]
	s_and_saveexec_b64 s[0:1], s[18:19]
	s_cbranch_execnz .LBB7_257
.LBB7_213:
	s_or_b64 exec, exec, s[0:1]
	s_and_saveexec_b64 s[0:1], s[20:21]
	s_cbranch_execnz .LBB7_258
.LBB7_214:
	s_or_b64 exec, exec, s[0:1]
	s_and_saveexec_b64 s[0:1], s[22:23]
	s_cbranch_execnz .LBB7_259
.LBB7_215:
	s_or_b64 exec, exec, s[0:1]
	s_and_saveexec_b64 s[0:1], s[24:25]
	s_cbranch_execnz .LBB7_260
.LBB7_216:
	s_or_b64 exec, exec, s[0:1]
	s_and_b64 exec, exec, s[26:27]
	s_cbranch_execz .LBB7_218
.LBB7_217:
	v_add_co_u32_e32 v0, vcc, 0xf000, v0
	s_nop 1
	v_addc_co_u32_e32 v1, vcc, 0, v1, vcc
	global_store_dword v[0:1], v4, off offset:3072
.LBB7_218:
	s_endpgm
.LBB7_219:
	v_add_co_u32_e32 v2, vcc, 0x5000, v0
	s_nop 1
	v_addc_co_u32_e32 v3, vcc, 0, v1, vcc
	global_store_dword v[2:3], v71, off offset:1024
	s_or_b64 exec, exec, s[0:1]
	s_and_saveexec_b64 s[0:1], s[44:45]
	s_cbranch_execz .LBB7_176
.LBB7_220:
	v_add_co_u32_e32 v2, vcc, 0x5000, v0
	s_nop 1
	v_addc_co_u32_e32 v3, vcc, 0, v1, vcc
	global_store_dword v[2:3], v70, off offset:2048
	s_or_b64 exec, exec, s[0:1]
	s_and_saveexec_b64 s[0:1], s[46:47]
	s_cbranch_execz .LBB7_177
.LBB7_221:
	v_add_co_u32_e32 v2, vcc, 0x5000, v0
	s_nop 1
	v_addc_co_u32_e32 v3, vcc, 0, v1, vcc
	global_store_dword v[2:3], v67, off offset:3072
	s_or_b64 exec, exec, s[0:1]
	s_and_saveexec_b64 s[0:1], s[48:49]
	s_cbranch_execz .LBB7_178
.LBB7_222:
	scratch_load_dwordx2 v[2:3], off, off offset:336 ; 8-byte Folded Reload
	s_waitcnt vmcnt(0)
	v_lshl_add_u64 v[2:3], v[2:3], 2, s[30:31]
	global_store_dword v[2:3], v66, off
	s_or_b64 exec, exec, s[0:1]
	s_and_saveexec_b64 s[0:1], s[50:51]
	s_cbranch_execz .LBB7_179
.LBB7_223:
	v_add_co_u32_e32 v2, vcc, 0x6000, v0
	s_nop 1
	v_addc_co_u32_e32 v3, vcc, 0, v1, vcc
	global_store_dword v[2:3], v65, off offset:1024
	s_or_b64 exec, exec, s[0:1]
	s_and_saveexec_b64 s[0:1], s[52:53]
	s_cbranch_execz .LBB7_180
.LBB7_224:
	v_add_co_u32_e32 v2, vcc, 0x6000, v0
	s_nop 1
	v_addc_co_u32_e32 v3, vcc, 0, v1, vcc
	global_store_dword v[2:3], v64, off offset:2048
	s_or_b64 exec, exec, s[0:1]
	s_and_saveexec_b64 s[0:1], s[54:55]
	s_cbranch_execz .LBB7_181
.LBB7_225:
	v_add_co_u32_e32 v2, vcc, 0x6000, v0
	s_nop 1
	v_addc_co_u32_e32 v3, vcc, 0, v1, vcc
	global_store_dword v[2:3], v61, off offset:3072
	s_or_b64 exec, exec, s[0:1]
	s_and_saveexec_b64 s[0:1], s[56:57]
	s_cbranch_execz .LBB7_182
.LBB7_226:
	scratch_load_dwordx2 v[2:3], off, off offset:344 ; 8-byte Folded Reload
	s_waitcnt vmcnt(0)
	v_lshl_add_u64 v[2:3], v[2:3], 2, s[30:31]
	global_store_dword v[2:3], v60, off
	s_or_b64 exec, exec, s[0:1]
	s_and_saveexec_b64 s[0:1], s[58:59]
	s_cbranch_execz .LBB7_183
.LBB7_227:
	v_add_co_u32_e32 v2, vcc, 0x7000, v0
	s_nop 1
	v_addc_co_u32_e32 v3, vcc, 0, v1, vcc
	global_store_dword v[2:3], v59, off offset:1024
	s_or_b64 exec, exec, s[0:1]
	s_and_saveexec_b64 s[0:1], s[60:61]
	s_cbranch_execz .LBB7_184
.LBB7_228:
	v_add_co_u32_e32 v2, vcc, 0x7000, v0
	s_nop 1
	v_addc_co_u32_e32 v3, vcc, 0, v1, vcc
	global_store_dword v[2:3], v58, off offset:2048
	s_or_b64 exec, exec, s[0:1]
	s_and_saveexec_b64 s[0:1], s[62:63]
	s_cbranch_execz .LBB7_185
.LBB7_229:
	v_add_co_u32_e32 v2, vcc, 0x7000, v0
	s_nop 1
	v_addc_co_u32_e32 v3, vcc, 0, v1, vcc
	global_store_dword v[2:3], v55, off offset:3072
	s_or_b64 exec, exec, s[0:1]
	s_and_saveexec_b64 s[0:1], s[64:65]
	s_cbranch_execz .LBB7_186
.LBB7_230:
	scratch_load_dwordx2 v[2:3], off, off offset:352 ; 8-byte Folded Reload
	s_waitcnt vmcnt(0)
	v_lshl_add_u64 v[2:3], v[2:3], 2, s[30:31]
	global_store_dword v[2:3], v54, off
	s_or_b64 exec, exec, s[0:1]
	s_and_saveexec_b64 s[0:1], s[66:67]
	s_cbranch_execz .LBB7_187
.LBB7_231:
	v_add_co_u32_e32 v2, vcc, 0x8000, v0
	s_nop 1
	v_addc_co_u32_e32 v3, vcc, 0, v1, vcc
	global_store_dword v[2:3], v51, off offset:1024
	s_or_b64 exec, exec, s[0:1]
	s_and_saveexec_b64 s[0:1], s[68:69]
	s_cbranch_execz .LBB7_188
.LBB7_232:
	v_add_co_u32_e32 v2, vcc, 0x8000, v0
	s_nop 1
	v_addc_co_u32_e32 v3, vcc, 0, v1, vcc
	global_store_dword v[2:3], v50, off offset:2048
	s_or_b64 exec, exec, s[0:1]
	s_and_saveexec_b64 s[0:1], s[70:71]
	s_cbranch_execz .LBB7_189
.LBB7_233:
	v_add_co_u32_e32 v2, vcc, 0x8000, v0
	s_nop 1
	v_addc_co_u32_e32 v3, vcc, 0, v1, vcc
	global_store_dword v[2:3], v49, off offset:3072
	s_or_b64 exec, exec, s[0:1]
	s_and_saveexec_b64 s[0:1], s[72:73]
	s_cbranch_execz .LBB7_190
.LBB7_234:
	scratch_load_dwordx2 v[2:3], off, off offset:360 ; 8-byte Folded Reload
	s_waitcnt vmcnt(0)
	v_lshl_add_u64 v[2:3], v[2:3], 2, s[30:31]
	global_store_dword v[2:3], v48, off
	s_or_b64 exec, exec, s[0:1]
	s_and_saveexec_b64 s[0:1], s[74:75]
	s_cbranch_execz .LBB7_191
.LBB7_235:
	v_add_co_u32_e32 v2, vcc, 0x9000, v0
	s_nop 1
	v_addc_co_u32_e32 v3, vcc, 0, v1, vcc
	global_store_dword v[2:3], v45, off offset:1024
	s_or_b64 exec, exec, s[0:1]
	s_and_saveexec_b64 s[0:1], s[76:77]
	s_cbranch_execz .LBB7_192
.LBB7_236:
	v_add_co_u32_e32 v2, vcc, 0x9000, v0
	s_nop 1
	v_addc_co_u32_e32 v3, vcc, 0, v1, vcc
	global_store_dword v[2:3], v44, off offset:2048
	s_or_b64 exec, exec, s[0:1]
	s_and_saveexec_b64 s[0:1], s[78:79]
	s_cbranch_execz .LBB7_193
.LBB7_237:
	v_add_co_u32_e32 v2, vcc, 0x9000, v0
	s_nop 1
	v_addc_co_u32_e32 v3, vcc, 0, v1, vcc
	global_store_dword v[2:3], v41, off offset:3072
	s_or_b64 exec, exec, s[0:1]
	s_and_saveexec_b64 s[0:1], s[80:81]
	s_cbranch_execz .LBB7_194
.LBB7_238:
	scratch_load_dwordx2 v[2:3], off, off offset:368 ; 8-byte Folded Reload
	s_waitcnt vmcnt(0)
	v_lshl_add_u64 v[2:3], v[2:3], 2, s[30:31]
	global_store_dword v[2:3], v40, off
	s_or_b64 exec, exec, s[0:1]
	s_and_saveexec_b64 s[0:1], s[82:83]
	s_cbranch_execz .LBB7_195
.LBB7_239:
	v_add_co_u32_e32 v2, vcc, 0xa000, v0
	s_nop 1
	v_addc_co_u32_e32 v3, vcc, 0, v1, vcc
	global_store_dword v[2:3], v39, off offset:1024
	s_or_b64 exec, exec, s[0:1]
	s_and_saveexec_b64 s[0:1], s[84:85]
	s_cbranch_execz .LBB7_196
.LBB7_240:
	v_add_co_u32_e32 v2, vcc, 0xa000, v0
	s_nop 1
	v_addc_co_u32_e32 v3, vcc, 0, v1, vcc
	global_store_dword v[2:3], v38, off offset:2048
	s_or_b64 exec, exec, s[0:1]
	s_and_saveexec_b64 s[0:1], s[86:87]
	s_cbranch_execz .LBB7_197
.LBB7_241:
	v_add_co_u32_e32 v2, vcc, 0xa000, v0
	s_nop 1
	v_addc_co_u32_e32 v3, vcc, 0, v1, vcc
	global_store_dword v[2:3], v35, off offset:3072
	s_or_b64 exec, exec, s[0:1]
	s_and_saveexec_b64 s[0:1], s[88:89]
	s_cbranch_execz .LBB7_198
.LBB7_242:
	scratch_load_dwordx2 v[2:3], off, off offset:376 ; 8-byte Folded Reload
	s_waitcnt vmcnt(0)
	v_lshl_add_u64 v[2:3], v[2:3], 2, s[30:31]
	global_store_dword v[2:3], v34, off
	s_or_b64 exec, exec, s[0:1]
	s_and_saveexec_b64 s[0:1], s[90:91]
	s_cbranch_execz .LBB7_199
.LBB7_243:
	v_add_co_u32_e32 v2, vcc, 0xb000, v0
	s_nop 1
	v_addc_co_u32_e32 v3, vcc, 0, v1, vcc
	global_store_dword v[2:3], v31, off offset:1024
	s_or_b64 exec, exec, s[0:1]
	s_and_saveexec_b64 s[0:1], s[92:93]
	s_cbranch_execz .LBB7_200
.LBB7_244:
	v_add_co_u32_e32 v2, vcc, 0xb000, v0
	s_nop 1
	v_addc_co_u32_e32 v3, vcc, 0, v1, vcc
	global_store_dword v[2:3], v30, off offset:2048
	s_or_b64 exec, exec, s[0:1]
	s_and_saveexec_b64 s[0:1], s[94:95]
	s_cbranch_execz .LBB7_201
.LBB7_245:
	v_add_co_u32_e32 v2, vcc, 0xb000, v0
	s_nop 1
	v_addc_co_u32_e32 v3, vcc, 0, v1, vcc
	global_store_dword v[2:3], v29, off offset:3072
	s_or_b64 exec, exec, s[0:1]
	s_and_saveexec_b64 s[0:1], s[96:97]
	s_cbranch_execz .LBB7_202
.LBB7_246:
	scratch_load_dwordx2 v[2:3], off, off offset:384 ; 8-byte Folded Reload
	s_waitcnt vmcnt(0)
	v_lshl_add_u64 v[2:3], v[2:3], 2, s[30:31]
	global_store_dword v[2:3], v28, off
	s_or_b64 exec, exec, s[0:1]
	s_and_saveexec_b64 s[0:1], s[98:99]
	s_cbranch_execz .LBB7_203
.LBB7_247:
	v_add_co_u32_e32 v2, vcc, 0xc000, v0
	s_nop 1
	v_addc_co_u32_e32 v3, vcc, 0, v1, vcc
	global_store_dword v[2:3], v25, off offset:1024
	s_or_b64 exec, exec, s[0:1]
	s_and_saveexec_b64 s[0:1], s[28:29]
	s_cbranch_execz .LBB7_204
.LBB7_248:
	v_add_co_u32_e32 v2, vcc, 0xc000, v0
	s_nop 1
	v_addc_co_u32_e32 v3, vcc, 0, v1, vcc
	global_store_dword v[2:3], v24, off offset:2048
	s_or_b64 exec, exec, s[0:1]
	s_and_saveexec_b64 s[0:1], s[2:3]
	s_cbranch_execz .LBB7_205
.LBB7_249:
	v_add_co_u32_e32 v2, vcc, 0xc000, v0
	s_nop 1
	v_addc_co_u32_e32 v3, vcc, 0, v1, vcc
	global_store_dword v[2:3], v23, off offset:3072
	s_or_b64 exec, exec, s[0:1]
	s_and_saveexec_b64 s[0:1], s[4:5]
	s_cbranch_execz .LBB7_206
.LBB7_250:
	scratch_load_dwordx2 v[2:3], off, off offset:392 ; 8-byte Folded Reload
	s_waitcnt vmcnt(0)
	v_lshl_add_u64 v[2:3], v[2:3], 2, s[30:31]
	global_store_dword v[2:3], v22, off
	s_or_b64 exec, exec, s[0:1]
	s_and_saveexec_b64 s[0:1], s[6:7]
	s_cbranch_execz .LBB7_207
.LBB7_251:
	v_add_co_u32_e32 v2, vcc, 0xd000, v0
	s_nop 1
	v_addc_co_u32_e32 v3, vcc, 0, v1, vcc
	global_store_dword v[2:3], v19, off offset:1024
	s_or_b64 exec, exec, s[0:1]
	s_and_saveexec_b64 s[0:1], s[8:9]
	s_cbranch_execz .LBB7_208
.LBB7_252:
	v_add_co_u32_e32 v2, vcc, 0xd000, v0
	s_nop 1
	v_addc_co_u32_e32 v3, vcc, 0, v1, vcc
	global_store_dword v[2:3], v18, off offset:2048
	s_or_b64 exec, exec, s[0:1]
	s_and_saveexec_b64 s[0:1], s[10:11]
	s_cbranch_execz .LBB7_209
.LBB7_253:
	v_add_co_u32_e32 v2, vcc, 0xd000, v0
	s_nop 1
	v_addc_co_u32_e32 v3, vcc, 0, v1, vcc
	global_store_dword v[2:3], v15, off offset:3072
	s_or_b64 exec, exec, s[0:1]
	s_and_saveexec_b64 s[0:1], s[12:13]
	s_cbranch_execz .LBB7_210
.LBB7_254:
	scratch_load_dwordx2 v[2:3], off, off offset:400 ; 8-byte Folded Reload
	s_waitcnt vmcnt(0)
	v_lshl_add_u64 v[2:3], v[2:3], 2, s[30:31]
	global_store_dword v[2:3], v14, off
	s_or_b64 exec, exec, s[0:1]
	s_and_saveexec_b64 s[0:1], s[14:15]
	s_cbranch_execz .LBB7_211
.LBB7_255:
	v_add_co_u32_e32 v2, vcc, 0xe000, v0
	s_nop 1
	v_addc_co_u32_e32 v3, vcc, 0, v1, vcc
	global_store_dword v[2:3], v11, off offset:1024
	s_or_b64 exec, exec, s[0:1]
	s_and_saveexec_b64 s[0:1], s[16:17]
	s_cbranch_execz .LBB7_212
.LBB7_256:
	v_add_co_u32_e32 v2, vcc, 0xe000, v0
	s_nop 1
	v_addc_co_u32_e32 v3, vcc, 0, v1, vcc
	global_store_dword v[2:3], v10, off offset:2048
	s_or_b64 exec, exec, s[0:1]
	s_and_saveexec_b64 s[0:1], s[18:19]
	s_cbranch_execz .LBB7_213
.LBB7_257:
	v_add_co_u32_e32 v2, vcc, 0xe000, v0
	s_nop 1
	v_addc_co_u32_e32 v3, vcc, 0, v1, vcc
	global_store_dword v[2:3], v9, off offset:3072
	s_or_b64 exec, exec, s[0:1]
	s_and_saveexec_b64 s[0:1], s[20:21]
	s_cbranch_execz .LBB7_214
.LBB7_258:
	scratch_load_dwordx2 v[2:3], off, off offset:408 ; 8-byte Folded Reload
	s_waitcnt vmcnt(0)
	v_lshl_add_u64 v[2:3], v[2:3], 2, s[30:31]
	global_store_dword v[2:3], v8, off
	s_or_b64 exec, exec, s[0:1]
	s_and_saveexec_b64 s[0:1], s[22:23]
	s_cbranch_execz .LBB7_215
.LBB7_259:
	v_add_co_u32_e32 v2, vcc, 0xf000, v0
	s_nop 1
	v_addc_co_u32_e32 v3, vcc, 0, v1, vcc
	global_store_dword v[2:3], v126, off offset:1024
	s_or_b64 exec, exec, s[0:1]
	s_and_saveexec_b64 s[0:1], s[24:25]
	s_cbranch_execz .LBB7_216
.LBB7_260:
	v_add_co_u32_e32 v2, vcc, 0xf000, v0
	s_nop 1
	v_addc_co_u32_e32 v3, vcc, 0, v1, vcc
	global_store_dword v[2:3], v5, off offset:2048
	s_or_b64 exec, exec, s[0:1]
	s_and_b64 exec, exec, s[26:27]
	s_cbranch_execnz .LBB7_217
	s_branch .LBB7_218
	.section	.rodata,"a",@progbits
	.p2align	6, 0x0
	.amdhsa_kernel _Z10pnpoly_optILi64EEvPiPK15HIP_vector_typeIfLj2EES4_i
		.amdhsa_group_segment_fixed_size 0
		.amdhsa_private_segment_fixed_size 420
		.amdhsa_kernarg_size 28
		.amdhsa_user_sgpr_count 2
		.amdhsa_user_sgpr_dispatch_ptr 0
		.amdhsa_user_sgpr_queue_ptr 0
		.amdhsa_user_sgpr_kernarg_segment_ptr 1
		.amdhsa_user_sgpr_dispatch_id 0
		.amdhsa_user_sgpr_kernarg_preload_length 0
		.amdhsa_user_sgpr_kernarg_preload_offset 0
		.amdhsa_user_sgpr_private_segment_size 0
		.amdhsa_uses_dynamic_stack 0
		.amdhsa_enable_private_segment 1
		.amdhsa_system_sgpr_workgroup_id_x 1
		.amdhsa_system_sgpr_workgroup_id_y 0
		.amdhsa_system_sgpr_workgroup_id_z 0
		.amdhsa_system_sgpr_workgroup_info 0
		.amdhsa_system_vgpr_workitem_id 0
		.amdhsa_next_free_vgpr 128
		.amdhsa_next_free_sgpr 100
		.amdhsa_accum_offset 128
		.amdhsa_reserve_vcc 1
		.amdhsa_float_round_mode_32 0
		.amdhsa_float_round_mode_16_64 0
		.amdhsa_float_denorm_mode_32 3
		.amdhsa_float_denorm_mode_16_64 3
		.amdhsa_dx10_clamp 1
		.amdhsa_ieee_mode 1
		.amdhsa_fp16_overflow 0
		.amdhsa_tg_split 0
		.amdhsa_exception_fp_ieee_invalid_op 0
		.amdhsa_exception_fp_denorm_src 0
		.amdhsa_exception_fp_ieee_div_zero 0
		.amdhsa_exception_fp_ieee_overflow 0
		.amdhsa_exception_fp_ieee_underflow 0
		.amdhsa_exception_fp_ieee_inexact 0
		.amdhsa_exception_int_div_zero 0
	.end_amdhsa_kernel
	.section	.text._Z10pnpoly_optILi64EEvPiPK15HIP_vector_typeIfLj2EES4_i,"axG",@progbits,_Z10pnpoly_optILi64EEvPiPK15HIP_vector_typeIfLj2EES4_i,comdat
.Lfunc_end7:
	.size	_Z10pnpoly_optILi64EEvPiPK15HIP_vector_typeIfLj2EES4_i, .Lfunc_end7-_Z10pnpoly_optILi64EEvPiPK15HIP_vector_typeIfLj2EES4_i
                                        ; -- End function
	.set _Z10pnpoly_optILi64EEvPiPK15HIP_vector_typeIfLj2EES4_i.num_vgpr, 128
	.set _Z10pnpoly_optILi64EEvPiPK15HIP_vector_typeIfLj2EES4_i.num_agpr, 0
	.set _Z10pnpoly_optILi64EEvPiPK15HIP_vector_typeIfLj2EES4_i.numbered_sgpr, 100
	.set _Z10pnpoly_optILi64EEvPiPK15HIP_vector_typeIfLj2EES4_i.num_named_barrier, 0
	.set _Z10pnpoly_optILi64EEvPiPK15HIP_vector_typeIfLj2EES4_i.private_seg_size, 420
	.set _Z10pnpoly_optILi64EEvPiPK15HIP_vector_typeIfLj2EES4_i.uses_vcc, 1
	.set _Z10pnpoly_optILi64EEvPiPK15HIP_vector_typeIfLj2EES4_i.uses_flat_scratch, 0
	.set _Z10pnpoly_optILi64EEvPiPK15HIP_vector_typeIfLj2EES4_i.has_dyn_sized_stack, 0
	.set _Z10pnpoly_optILi64EEvPiPK15HIP_vector_typeIfLj2EES4_i.has_recursion, 0
	.set _Z10pnpoly_optILi64EEvPiPK15HIP_vector_typeIfLj2EES4_i.has_indirect_call, 0
	.section	.AMDGPU.csdata,"",@progbits
; Kernel info:
; codeLenInByte = 13156
; TotalNumSgprs: 106
; NumVgprs: 128
; NumAgprs: 0
; TotalNumVgprs: 128
; ScratchSize: 420
; MemoryBound: 0
; FloatMode: 240
; IeeeMode: 1
; LDSByteSize: 0 bytes/workgroup (compile time only)
; SGPRBlocks: 13
; VGPRBlocks: 15
; NumSGPRsForWavesPerEU: 106
; NumVGPRsForWavesPerEU: 128
; AccumOffset: 128
; Occupancy: 4
; WaveLimiterHint : 0
; COMPUTE_PGM_RSRC2:SCRATCH_EN: 1
; COMPUTE_PGM_RSRC2:USER_SGPR: 2
; COMPUTE_PGM_RSRC2:TRAP_HANDLER: 0
; COMPUTE_PGM_RSRC2:TGID_X_EN: 1
; COMPUTE_PGM_RSRC2:TGID_Y_EN: 0
; COMPUTE_PGM_RSRC2:TGID_Z_EN: 0
; COMPUTE_PGM_RSRC2:TIDIG_COMP_CNT: 0
; COMPUTE_PGM_RSRC3_GFX90A:ACCUM_OFFSET: 31
; COMPUTE_PGM_RSRC3_GFX90A:TG_SPLIT: 0
	.text
	.p2alignl 6, 3212836864
	.fill 256, 4, 3212836864
	.section	.AMDGPU.gpr_maximums,"",@progbits
	.set amdgpu.max_num_vgpr, 0
	.set amdgpu.max_num_agpr, 0
	.set amdgpu.max_num_sgpr, 0
	.text
	.type	__hip_cuid_b075be72d9dfdb9b,@object ; @__hip_cuid_b075be72d9dfdb9b
	.section	.bss,"aw",@nobits
	.globl	__hip_cuid_b075be72d9dfdb9b
__hip_cuid_b075be72d9dfdb9b:
	.byte	0                               ; 0x0
	.size	__hip_cuid_b075be72d9dfdb9b, 1

	.ident	"AMD clang version 22.0.0git (https://github.com/RadeonOpenCompute/llvm-project roc-7.2.4 26084 f58b06dce1f9c15707c5f808fd002e18c2accf7e)"
	.section	".note.GNU-stack","",@progbits
	.addrsig
	.addrsig_sym __hip_cuid_b075be72d9dfdb9b
	.amdgpu_metadata
---
amdhsa.kernels:
  - .agpr_count:     0
    .args:
      - .actual_access:  write_only
        .address_space:  global
        .offset:         0
        .size:           8
        .value_kind:     global_buffer
      - .actual_access:  read_only
        .address_space:  global
        .offset:         8
        .size:           8
        .value_kind:     global_buffer
      - .actual_access:  read_only
        .address_space:  global
        .offset:         16
        .size:           8
        .value_kind:     global_buffer
      - .offset:         24
        .size:           4
        .value_kind:     by_value
      - .offset:         32
        .size:           4
        .value_kind:     hidden_block_count_x
      - .offset:         36
        .size:           4
        .value_kind:     hidden_block_count_y
      - .offset:         40
        .size:           4
        .value_kind:     hidden_block_count_z
      - .offset:         44
        .size:           2
        .value_kind:     hidden_group_size_x
      - .offset:         46
        .size:           2
        .value_kind:     hidden_group_size_y
      - .offset:         48
        .size:           2
        .value_kind:     hidden_group_size_z
      - .offset:         50
        .size:           2
        .value_kind:     hidden_remainder_x
      - .offset:         52
        .size:           2
        .value_kind:     hidden_remainder_y
      - .offset:         54
        .size:           2
        .value_kind:     hidden_remainder_z
      - .offset:         72
        .size:           8
        .value_kind:     hidden_global_offset_x
      - .offset:         80
        .size:           8
        .value_kind:     hidden_global_offset_y
      - .offset:         88
        .size:           8
        .value_kind:     hidden_global_offset_z
      - .offset:         96
        .size:           2
        .value_kind:     hidden_grid_dims
    .group_segment_fixed_size: 0
    .kernarg_segment_align: 8
    .kernarg_segment_size: 288
    .language:       OpenCL C
    .language_version:
      - 2
      - 0
    .max_flat_workgroup_size: 1024
    .name:           _Z11pnpoly_basePiPK15HIP_vector_typeIfLj2EES3_i
    .private_segment_fixed_size: 0
    .sgpr_count:     24
    .sgpr_spill_count: 0
    .symbol:         _Z11pnpoly_basePiPK15HIP_vector_typeIfLj2EES3_i.kd
    .uniform_work_group_size: 1
    .uses_dynamic_stack: false
    .vgpr_count:     14
    .vgpr_spill_count: 0
    .wavefront_size: 64
  - .agpr_count:     0
    .args:
      - .actual_access:  write_only
        .address_space:  global
        .offset:         0
        .size:           8
        .value_kind:     global_buffer
      - .actual_access:  read_only
        .address_space:  global
        .offset:         8
        .size:           8
        .value_kind:     global_buffer
      - .actual_access:  read_only
        .address_space:  global
        .offset:         16
        .size:           8
        .value_kind:     global_buffer
      - .offset:         24
        .size:           4
        .value_kind:     by_value
    .group_segment_fixed_size: 0
    .kernarg_segment_align: 8
    .kernarg_segment_size: 28
    .language:       OpenCL C
    .language_version:
      - 2
      - 0
    .max_flat_workgroup_size: 1024
    .name:           _Z10pnpoly_optILi1EEvPiPK15HIP_vector_typeIfLj2EES4_i
    .private_segment_fixed_size: 0
    .sgpr_count:     42
    .sgpr_spill_count: 0
    .symbol:         _Z10pnpoly_optILi1EEvPiPK15HIP_vector_typeIfLj2EES4_i.kd
    .uniform_work_group_size: 1
    .uses_dynamic_stack: false
    .vgpr_count:     24
    .vgpr_spill_count: 0
    .wavefront_size: 64
  - .agpr_count:     0
    .args:
      - .actual_access:  write_only
        .address_space:  global
        .offset:         0
        .size:           8
        .value_kind:     global_buffer
      - .actual_access:  read_only
        .address_space:  global
        .offset:         8
        .size:           8
        .value_kind:     global_buffer
      - .actual_access:  read_only
        .address_space:  global
        .offset:         16
        .size:           8
        .value_kind:     global_buffer
      - .offset:         24
        .size:           4
        .value_kind:     by_value
    .group_segment_fixed_size: 0
    .kernarg_segment_align: 8
    .kernarg_segment_size: 28
    .language:       OpenCL C
    .language_version:
      - 2
      - 0
    .max_flat_workgroup_size: 1024
    .name:           _Z10pnpoly_optILi2EEvPiPK15HIP_vector_typeIfLj2EES4_i
    .private_segment_fixed_size: 0
    .sgpr_count:     24
    .sgpr_spill_count: 0
    .symbol:         _Z10pnpoly_optILi2EEvPiPK15HIP_vector_typeIfLj2EES4_i.kd
    .uniform_work_group_size: 1
    .uses_dynamic_stack: false
    .vgpr_count:     15
    .vgpr_spill_count: 0
    .wavefront_size: 64
  - .agpr_count:     0
    .args:
      - .actual_access:  write_only
        .address_space:  global
        .offset:         0
        .size:           8
        .value_kind:     global_buffer
      - .actual_access:  read_only
        .address_space:  global
        .offset:         8
        .size:           8
        .value_kind:     global_buffer
      - .actual_access:  read_only
        .address_space:  global
        .offset:         16
        .size:           8
        .value_kind:     global_buffer
      - .offset:         24
        .size:           4
        .value_kind:     by_value
    .group_segment_fixed_size: 0
    .kernarg_segment_align: 8
    .kernarg_segment_size: 28
    .language:       OpenCL C
    .language_version:
      - 2
      - 0
    .max_flat_workgroup_size: 1024
    .name:           _Z10pnpoly_optILi4EEvPiPK15HIP_vector_typeIfLj2EES4_i
    .private_segment_fixed_size: 0
    .sgpr_count:     26
    .sgpr_spill_count: 0
    .symbol:         _Z10pnpoly_optILi4EEvPiPK15HIP_vector_typeIfLj2EES4_i.kd
    .uniform_work_group_size: 1
    .uses_dynamic_stack: false
    .vgpr_count:     21
    .vgpr_spill_count: 0
    .wavefront_size: 64
  - .agpr_count:     0
    .args:
      - .actual_access:  write_only
        .address_space:  global
        .offset:         0
        .size:           8
        .value_kind:     global_buffer
      - .actual_access:  read_only
        .address_space:  global
        .offset:         8
        .size:           8
        .value_kind:     global_buffer
      - .actual_access:  read_only
        .address_space:  global
        .offset:         16
        .size:           8
        .value_kind:     global_buffer
      - .offset:         24
        .size:           4
        .value_kind:     by_value
    .group_segment_fixed_size: 0
    .kernarg_segment_align: 8
    .kernarg_segment_size: 28
    .language:       OpenCL C
    .language_version:
      - 2
      - 0
    .max_flat_workgroup_size: 1024
    .name:           _Z10pnpoly_optILi8EEvPiPK15HIP_vector_typeIfLj2EES4_i
    .private_segment_fixed_size: 0
    .sgpr_count:     34
    .sgpr_spill_count: 0
    .symbol:         _Z10pnpoly_optILi8EEvPiPK15HIP_vector_typeIfLj2EES4_i.kd
    .uniform_work_group_size: 1
    .uses_dynamic_stack: false
    .vgpr_count:     35
    .vgpr_spill_count: 0
    .wavefront_size: 64
  - .agpr_count:     0
    .args:
      - .actual_access:  write_only
        .address_space:  global
        .offset:         0
        .size:           8
        .value_kind:     global_buffer
      - .actual_access:  read_only
        .address_space:  global
        .offset:         8
        .size:           8
        .value_kind:     global_buffer
      - .actual_access:  read_only
        .address_space:  global
        .offset:         16
        .size:           8
        .value_kind:     global_buffer
      - .offset:         24
        .size:           4
        .value_kind:     by_value
    .group_segment_fixed_size: 0
    .kernarg_segment_align: 8
    .kernarg_segment_size: 28
    .language:       OpenCL C
    .language_version:
      - 2
      - 0
    .max_flat_workgroup_size: 1024
    .name:           _Z10pnpoly_optILi16EEvPiPK15HIP_vector_typeIfLj2EES4_i
    .private_segment_fixed_size: 0
    .sgpr_count:     52
    .sgpr_spill_count: 0
    .symbol:         _Z10pnpoly_optILi16EEvPiPK15HIP_vector_typeIfLj2EES4_i.kd
    .uniform_work_group_size: 1
    .uses_dynamic_stack: false
    .vgpr_count:     63
    .vgpr_spill_count: 0
    .wavefront_size: 64
  - .agpr_count:     0
    .args:
      - .actual_access:  write_only
        .address_space:  global
        .offset:         0
        .size:           8
        .value_kind:     global_buffer
      - .actual_access:  read_only
        .address_space:  global
        .offset:         8
        .size:           8
        .value_kind:     global_buffer
      - .actual_access:  read_only
        .address_space:  global
        .offset:         16
        .size:           8
        .value_kind:     global_buffer
      - .offset:         24
        .size:           4
        .value_kind:     by_value
    .group_segment_fixed_size: 0
    .kernarg_segment_align: 8
    .kernarg_segment_size: 28
    .language:       OpenCL C
    .language_version:
      - 2
      - 0
    .max_flat_workgroup_size: 1024
    .name:           _Z10pnpoly_optILi32EEvPiPK15HIP_vector_typeIfLj2EES4_i
    .private_segment_fixed_size: 0
    .sgpr_count:     84
    .sgpr_spill_count: 0
    .symbol:         _Z10pnpoly_optILi32EEvPiPK15HIP_vector_typeIfLj2EES4_i.kd
    .uniform_work_group_size: 1
    .uses_dynamic_stack: false
    .vgpr_count:     119
    .vgpr_spill_count: 0
    .wavefront_size: 64
  - .agpr_count:     0
    .args:
      - .actual_access:  write_only
        .address_space:  global
        .offset:         0
        .size:           8
        .value_kind:     global_buffer
      - .actual_access:  read_only
        .address_space:  global
        .offset:         8
        .size:           8
        .value_kind:     global_buffer
      - .actual_access:  read_only
        .address_space:  global
        .offset:         16
        .size:           8
        .value_kind:     global_buffer
      - .offset:         24
        .size:           4
        .value_kind:     by_value
    .group_segment_fixed_size: 0
    .kernarg_segment_align: 8
    .kernarg_segment_size: 28
    .language:       OpenCL C
    .language_version:
      - 2
      - 0
    .max_flat_workgroup_size: 1024
    .name:           _Z10pnpoly_optILi64EEvPiPK15HIP_vector_typeIfLj2EES4_i
    .private_segment_fixed_size: 420
    .sgpr_count:     106
    .sgpr_spill_count: 42
    .symbol:         _Z10pnpoly_optILi64EEvPiPK15HIP_vector_typeIfLj2EES4_i.kd
    .uniform_work_group_size: 1
    .uses_dynamic_stack: false
    .vgpr_count:     128
    .vgpr_spill_count: 174
    .wavefront_size: 64
amdhsa.target:   amdgcn-amd-amdhsa--gfx950
amdhsa.version:
  - 1
  - 2
...

	.end_amdgpu_metadata
